;; amdgpu-corpus repo=ROCm/rocFFT kind=compiled arch=gfx906 opt=O3
	.text
	.amdgcn_target "amdgcn-amd-amdhsa--gfx906"
	.amdhsa_code_object_version 6
	.protected	bluestein_single_fwd_len169_dim1_half_op_CI_CI ; -- Begin function bluestein_single_fwd_len169_dim1_half_op_CI_CI
	.globl	bluestein_single_fwd_len169_dim1_half_op_CI_CI
	.p2align	8
	.type	bluestein_single_fwd_len169_dim1_half_op_CI_CI,@function
bluestein_single_fwd_len169_dim1_half_op_CI_CI: ; @bluestein_single_fwd_len169_dim1_half_op_CI_CI
; %bb.0:
	v_mul_u32_u24_e32 v1, 0x13b2, v0
	s_load_dwordx4 s[8:11], s[4:5], 0x28
	v_lshrrev_b32_e32 v1, 16, v1
	v_mad_u64_u32 v[12:13], s[0:1], s6, 19, v[1:2]
	v_mov_b32_e32 v13, 0
	s_waitcnt lgkmcnt(0)
	v_cmp_gt_u64_e32 vcc, s[8:9], v[12:13]
	s_and_saveexec_b64 s[0:1], vcc
	s_cbranch_execz .LBB0_2
; %bb.1:
	s_load_dwordx4 s[16:19], s[4:5], 0x18
	s_load_dwordx4 s[0:3], s[4:5], 0x0
	v_mul_lo_u16_e32 v1, 13, v1
	v_sub_u16_e32 v32, v0, v1
	v_lshlrev_b32_e32 v13, 2, v32
	s_waitcnt lgkmcnt(0)
	s_load_dwordx4 s[12:15], s[16:17], 0x0
	global_load_dword v33, v13, s[0:1]
	s_mov_b32 s16, 0xb9fd
	s_mov_b32 s17, 0xb3a8bbc4
	s_mov_b32 s20, 0xb3a8
	s_waitcnt lgkmcnt(0)
	v_mad_u64_u32 v[0:1], s[6:7], s14, v12, 0
	v_mad_u64_u32 v[2:3], s[6:7], s12, v32, 0
	s_mul_hi_u32 s14, s12, 52
	s_mul_i32 s12, s12, 52
	v_mad_u64_u32 v[4:5], s[6:7], s15, v12, v[1:2]
	s_movk_i32 s15, 0x3b15
	s_movk_i32 s21, 0x33a8
	v_mad_u64_u32 v[5:6], s[6:7], s13, v32, v[3:4]
	v_mov_b32_e32 v1, v4
	v_lshlrev_b64 v[0:1], 2, v[0:1]
	v_mov_b32_e32 v3, v5
	v_mov_b32_e32 v6, s11
	v_lshlrev_b64 v[2:3], 2, v[2:3]
	v_add_co_u32_e32 v0, vcc, s10, v0
	v_addc_co_u32_e32 v1, vcc, v6, v1, vcc
	v_add_co_u32_e32 v0, vcc, v0, v2
	s_mov_b32 s6, 0xaf286bcb
	v_addc_co_u32_e32 v1, vcc, v1, v3, vcc
	v_mul_hi_u32 v3, v12, s6
	s_add_u32 s6, s0, 0x2a4
	s_mul_i32 s13, s13, 52
	global_load_dword v2, v[0:1], off
	v_sub_u32_e32 v4, v12, v3
	v_lshrrev_b32_e32 v4, 1, v4
	s_addc_u32 s7, s1, 0
	s_add_i32 s13, s14, s13
	v_add_u32_e32 v3, v4, v3
	v_mov_b32_e32 v4, s13
	v_add_co_u32_e32 v0, vcc, s12, v0
	v_addc_co_u32_e32 v1, vcc, v1, v4, vcc
	s_load_dwordx4 s[8:11], s[18:19], 0x0
	global_load_dword v31, v13, s[0:1] offset:52
	global_load_dword v30, v13, s[0:1] offset:104
	;; [unrolled: 1-line block ×8, first 2 shown]
	global_load_dword v4, v[0:1], off
	v_mov_b32_e32 v5, s13
	v_add_co_u32_e32 v0, vcc, s12, v0
	v_addc_co_u32_e32 v1, vcc, v1, v5, vcc
	global_load_dword v5, v[0:1], off
	v_mov_b32_e32 v6, s13
	v_add_co_u32_e32 v0, vcc, s12, v0
	v_addc_co_u32_e32 v1, vcc, v1, v6, vcc
	global_load_dword v6, v[0:1], off
	v_mov_b32_e32 v7, s13
	v_add_co_u32_e32 v0, vcc, s12, v0
	v_addc_co_u32_e32 v1, vcc, v1, v7, vcc
	global_load_dword v7, v[0:1], off
	v_mov_b32_e32 v8, s13
	v_add_co_u32_e32 v0, vcc, s12, v0
	v_addc_co_u32_e32 v1, vcc, v1, v8, vcc
	global_load_dword v8, v[0:1], off
	v_mov_b32_e32 v9, s13
	v_add_co_u32_e32 v0, vcc, s12, v0
	v_addc_co_u32_e32 v1, vcc, v1, v9, vcc
	global_load_dword v9, v[0:1], off
	v_mov_b32_e32 v10, s13
	v_add_co_u32_e32 v0, vcc, s12, v0
	v_addc_co_u32_e32 v1, vcc, v1, v10, vcc
	global_load_dword v10, v[0:1], off
	v_mov_b32_e32 v11, s13
	v_add_co_u32_e32 v0, vcc, s12, v0
	v_addc_co_u32_e32 v1, vcc, v1, v11, vcc
	global_load_dword v11, v[0:1], off
	v_mov_b32_e32 v14, s13
	v_add_co_u32_e32 v0, vcc, s12, v0
	v_addc_co_u32_e32 v1, vcc, v1, v14, vcc
	global_load_dword v14, v[0:1], off
	global_load_dword v23, v13, s[0:1] offset:468
	v_mov_b32_e32 v17, s13
	v_add_co_u32_e32 v0, vcc, s12, v0
	v_addc_co_u32_e32 v1, vcc, v1, v17, vcc
	global_load_dword v17, v[0:1], off
	global_load_dword v22, v13, s[0:1] offset:520
	v_mov_b32_e32 v18, s13
	v_add_co_u32_e32 v0, vcc, s12, v0
	v_addc_co_u32_e32 v1, vcc, v1, v18, vcc
	;; [unrolled: 5-line block ×3, first 2 shown]
	global_load_dword v34, v[0:1], off
	global_load_dword v19, v13, s[0:1] offset:624
	v_lshrrev_b32_e32 v3, 4, v3
	v_mul_lo_u32 v3, v3, 19
	s_waitcnt vmcnt(24)
	v_lshrrev_b32_e32 v15, 16, v2
	v_mul_f16_sdwa v16, v33, v15 dst_sel:DWORD dst_unused:UNUSED_PAD src0_sel:WORD_1 src1_sel:DWORD
	v_mul_f16_sdwa v1, v33, v2 dst_sel:DWORD dst_unused:UNUSED_PAD src0_sel:WORD_1 src1_sel:DWORD
	v_sub_u32_e32 v3, v12, v3
	v_fma_f16 v0, v33, v2, v16
	v_fma_f16 v1, v33, v15, -v1
	v_mul_u32_u24_e32 v3, 0xa9, v3
	v_pack_b32_f16 v0, v0, v1
	v_lshlrev_b32_e32 v16, 2, v3
	v_add_u32_e32 v20, v13, v16
	s_movk_i32 s13, 0x388b
	s_waitcnt vmcnt(15)
	v_lshrrev_b32_e32 v1, 16, v4
	v_mul_f16_sdwa v2, v31, v1 dst_sel:DWORD dst_unused:UNUSED_PAD src0_sel:WORD_1 src1_sel:DWORD
	v_mul_f16_sdwa v3, v31, v4 dst_sel:DWORD dst_unused:UNUSED_PAD src0_sel:WORD_1 src1_sel:DWORD
	v_fma_f16 v2, v31, v4, v2
	v_fma_f16 v1, v31, v1, -v3
	v_pack_b32_f16 v1, v2, v1
	ds_write2_b32 v20, v0, v1 offset1:13
	s_waitcnt vmcnt(14)
	v_lshrrev_b32_e32 v0, 16, v5
	v_mul_f16_sdwa v1, v30, v0 dst_sel:DWORD dst_unused:UNUSED_PAD src0_sel:WORD_1 src1_sel:DWORD
	v_mul_f16_sdwa v2, v30, v5 dst_sel:DWORD dst_unused:UNUSED_PAD src0_sel:WORD_1 src1_sel:DWORD
	v_fma_f16 v1, v30, v5, v1
	v_fma_f16 v0, v30, v0, -v2
	v_pack_b32_f16 v0, v1, v0
	s_waitcnt vmcnt(13)
	v_lshrrev_b32_e32 v1, 16, v6
	v_mul_f16_sdwa v2, v29, v1 dst_sel:DWORD dst_unused:UNUSED_PAD src0_sel:WORD_1 src1_sel:DWORD
	v_mul_f16_sdwa v3, v29, v6 dst_sel:DWORD dst_unused:UNUSED_PAD src0_sel:WORD_1 src1_sel:DWORD
	v_fma_f16 v2, v29, v6, v2
	v_fma_f16 v1, v29, v1, -v3
	v_pack_b32_f16 v1, v2, v1
	ds_write2_b32 v20, v0, v1 offset0:26 offset1:39
	s_waitcnt vmcnt(12)
	v_lshrrev_b32_e32 v0, 16, v7
	v_mul_f16_sdwa v1, v28, v0 dst_sel:DWORD dst_unused:UNUSED_PAD src0_sel:WORD_1 src1_sel:DWORD
	v_mul_f16_sdwa v2, v28, v7 dst_sel:DWORD dst_unused:UNUSED_PAD src0_sel:WORD_1 src1_sel:DWORD
	v_fma_f16 v1, v28, v7, v1
	v_fma_f16 v0, v28, v0, -v2
	v_pack_b32_f16 v0, v1, v0
	s_waitcnt vmcnt(11)
	v_lshrrev_b32_e32 v1, 16, v8
	v_mul_f16_sdwa v2, v27, v1 dst_sel:DWORD dst_unused:UNUSED_PAD src0_sel:WORD_1 src1_sel:DWORD
	v_mul_f16_sdwa v3, v27, v8 dst_sel:DWORD dst_unused:UNUSED_PAD src0_sel:WORD_1 src1_sel:DWORD
	v_fma_f16 v2, v27, v8, v2
	v_fma_f16 v1, v27, v1, -v3
	v_pack_b32_f16 v1, v2, v1
	ds_write2_b32 v20, v0, v1 offset0:52 offset1:65
	;; [unrolled: 15-line block ×3, first 2 shown]
	s_waitcnt vmcnt(8)
	v_lshrrev_b32_e32 v0, 16, v11
	v_mul_f16_sdwa v1, v24, v0 dst_sel:DWORD dst_unused:UNUSED_PAD src0_sel:WORD_1 src1_sel:DWORD
	v_mul_f16_sdwa v2, v24, v11 dst_sel:DWORD dst_unused:UNUSED_PAD src0_sel:WORD_1 src1_sel:DWORD
	v_fma_f16 v1, v24, v11, v1
	v_fma_f16 v0, v24, v0, -v2
	v_pack_b32_f16 v0, v1, v0
	s_waitcnt vmcnt(7)
	v_lshrrev_b32_e32 v1, 16, v14
	s_waitcnt vmcnt(6)
	v_mul_f16_sdwa v2, v23, v1 dst_sel:DWORD dst_unused:UNUSED_PAD src0_sel:WORD_1 src1_sel:DWORD
	v_mul_f16_sdwa v3, v23, v14 dst_sel:DWORD dst_unused:UNUSED_PAD src0_sel:WORD_1 src1_sel:DWORD
	v_fma_f16 v2, v23, v14, v2
	v_fma_f16 v1, v23, v1, -v3
	v_pack_b32_f16 v1, v2, v1
	ds_write2_b32 v20, v0, v1 offset0:104 offset1:117
	s_waitcnt vmcnt(5)
	v_lshrrev_b32_e32 v0, 16, v17
	s_waitcnt vmcnt(4)
	v_mul_f16_sdwa v1, v22, v0 dst_sel:DWORD dst_unused:UNUSED_PAD src0_sel:WORD_1 src1_sel:DWORD
	v_mul_f16_sdwa v2, v22, v17 dst_sel:DWORD dst_unused:UNUSED_PAD src0_sel:WORD_1 src1_sel:DWORD
	v_fma_f16 v1, v22, v17, v1
	v_fma_f16 v0, v22, v0, -v2
	v_pack_b32_f16 v0, v1, v0
	s_waitcnt vmcnt(3)
	v_lshrrev_b32_e32 v1, 16, v18
	s_waitcnt vmcnt(2)
	v_mul_f16_sdwa v2, v21, v1 dst_sel:DWORD dst_unused:UNUSED_PAD src0_sel:WORD_1 src1_sel:DWORD
	v_mul_f16_sdwa v3, v21, v18 dst_sel:DWORD dst_unused:UNUSED_PAD src0_sel:WORD_1 src1_sel:DWORD
	v_fma_f16 v2, v21, v18, v2
	v_fma_f16 v1, v21, v1, -v3
	v_pack_b32_f16 v1, v2, v1
	ds_write2_b32 v20, v0, v1 offset0:130 offset1:143
	s_waitcnt vmcnt(1)
	v_lshrrev_b32_e32 v0, 16, v34
	s_waitcnt vmcnt(0)
	v_mul_f16_sdwa v1, v19, v0 dst_sel:DWORD dst_unused:UNUSED_PAD src0_sel:WORD_1 src1_sel:DWORD
	v_mul_f16_sdwa v2, v19, v34 dst_sel:DWORD dst_unused:UNUSED_PAD src0_sel:WORD_1 src1_sel:DWORD
	v_fma_f16 v1, v19, v34, v1
	v_fma_f16 v0, v19, v0, -v2
	v_pack_b32_f16 v0, v1, v0
	ds_write_b32 v20, v0 offset:624
	s_waitcnt lgkmcnt(0)
	s_barrier
	ds_read2_b32 v[0:1], v20 offset0:26 offset1:39
	ds_read2_b32 v[2:3], v20 offset0:130 offset1:143
	ds_read2_b32 v[4:5], v20 offset1:13
	ds_read2_b32 v[6:7], v20 offset0:52 offset1:65
	ds_read2_b32 v[8:9], v20 offset0:78 offset1:91
	;; [unrolled: 1-line block ×3, first 2 shown]
	s_waitcnt lgkmcnt(4)
	v_add_f16_e32 v14, v3, v0
	s_waitcnt lgkmcnt(3)
	v_add_f16_e32 v34, v5, v4
	v_add_f16_sdwa v42, v5, v4 dst_sel:DWORD dst_unused:UNUSED_PAD src0_sel:WORD_1 src1_sel:WORD_1
	v_add_f16_sdwa v15, v3, v0 dst_sel:DWORD dst_unused:UNUSED_PAD src0_sel:WORD_1 src1_sel:WORD_1
	v_sub_f16_e32 v17, v0, v3
	v_sub_f16_sdwa v18, v0, v3 dst_sel:DWORD dst_unused:UNUSED_PAD src0_sel:WORD_1 src1_sel:WORD_1
	v_add_f16_e32 v34, v34, v0
	v_add_f16_sdwa v0, v42, v0 dst_sel:DWORD dst_unused:UNUSED_PAD src0_sel:DWORD src1_sel:WORD_1
	v_add_f16_e32 v34, v34, v1
	v_add_f16_sdwa v0, v0, v1 dst_sel:DWORD dst_unused:UNUSED_PAD src0_sel:DWORD src1_sel:WORD_1
	s_waitcnt lgkmcnt(2)
	v_add_f16_e32 v34, v34, v6
	v_add_f16_sdwa v0, v0, v6 dst_sel:DWORD dst_unused:UNUSED_PAD src0_sel:DWORD src1_sel:WORD_1
	s_waitcnt lgkmcnt(0)
	v_add_f16_e32 v35, v11, v6
	v_add_f16_sdwa v36, v11, v6 dst_sel:DWORD dst_unused:UNUSED_PAD src0_sel:WORD_1 src1_sel:WORD_1
	v_sub_f16_e32 v37, v6, v11
	v_sub_f16_sdwa v38, v6, v11 dst_sel:DWORD dst_unused:UNUSED_PAD src0_sel:WORD_1 src1_sel:WORD_1
	v_add_f16_e32 v6, v34, v7
	v_add_f16_sdwa v0, v0, v7 dst_sel:DWORD dst_unused:UNUSED_PAD src0_sel:DWORD src1_sel:WORD_1
	v_add_f16_e32 v6, v6, v8
	v_add_f16_sdwa v0, v0, v8 dst_sel:DWORD dst_unused:UNUSED_PAD src0_sel:DWORD src1_sel:WORD_1
	ds_read_b32 v43, v20 offset:624
	v_add_f16_e32 v6, v6, v9
	v_add_f16_sdwa v0, v0, v9 dst_sel:DWORD dst_unused:UNUSED_PAD src0_sel:DWORD src1_sel:WORD_1
	v_add_f16_e32 v6, v6, v10
	v_add_f16_sdwa v0, v0, v10 dst_sel:DWORD dst_unused:UNUSED_PAD src0_sel:DWORD src1_sel:WORD_1
	;; [unrolled: 2-line block ×4, first 2 shown]
	v_add_f16_e32 v39, v10, v7
	v_add_f16_sdwa v40, v10, v7 dst_sel:DWORD dst_unused:UNUSED_PAD src0_sel:WORD_1 src1_sel:WORD_1
	v_sub_f16_e32 v41, v7, v10
	v_sub_f16_sdwa v7, v7, v10 dst_sel:DWORD dst_unused:UNUSED_PAD src0_sel:WORD_1 src1_sel:WORD_1
	v_add_f16_e32 v42, v2, v1
	v_add_f16_sdwa v10, v2, v1 dst_sel:DWORD dst_unused:UNUSED_PAD src0_sel:WORD_1 src1_sel:WORD_1
	v_sub_f16_e32 v11, v1, v2
	v_sub_f16_sdwa v1, v1, v2 dst_sel:DWORD dst_unused:UNUSED_PAD src0_sel:WORD_1 src1_sel:WORD_1
	v_add_f16_e32 v2, v6, v3
	v_add_f16_sdwa v0, v0, v3 dst_sel:DWORD dst_unused:UNUSED_PAD src0_sel:DWORD src1_sel:WORD_1
	s_waitcnt lgkmcnt(0)
	v_add_f16_e32 v3, v43, v5
	v_sub_f16_sdwa v6, v5, v43 dst_sel:DWORD dst_unused:UNUSED_PAD src0_sel:WORD_1 src1_sel:WORD_1
	v_add_f16_sdwa v45, v43, v5 dst_sel:DWORD dst_unused:UNUSED_PAD src0_sel:WORD_1 src1_sel:WORD_1
	v_sub_f16_e32 v5, v5, v43
	v_mul_f16_e32 v46, 0xb770, v5
	v_mul_f16_e32 v50, 0xba95, v5
	s_movk_i32 s12, 0x2fb7
	v_mul_f16_e32 v54, 0xbbf1, v5
	s_mov_b32 s14, 0xb5ac
	v_mul_f16_e32 v58, 0xbb7b, v5
	v_mul_f16_e32 v60, 0xb94e, v5
	;; [unrolled: 1-line block ×3, first 2 shown]
	v_fma_f16 v47, v45, s15, v46
	v_fma_f16 v46, v45, s15, -v46
	v_mul_f16_e32 v48, 0xba95, v6
	v_fma_f16 v51, v45, s13, v50
	v_fma_f16 v50, v45, s13, -v50
	v_mul_f16_e32 v52, 0xbbf1, v6
	;; [unrolled: 3-line block ×3, first 2 shown]
	v_fma_f16 v59, v45, s14, v58
	v_fma_f16 v58, v45, s14, -v58
	v_fma_f16 v61, v45, s16, v60
	v_fma_f16 v60, v45, s16, -v60
	v_pack_b32_f16 v45, v45, v6
	v_mul_f16_e32 v6, 0xb94e, v6
	v_fma_f16 v44, v3, s15, -v34
	v_fma_f16 v34, v3, s15, v34
	v_fma_f16 v49, v3, s13, -v48
	v_fma_f16 v48, v3, s13, v48
	;; [unrolled: 2-line block ×5, first 2 shown]
	v_pack_b32_f16 v3, v5, v3
	s_mov_b32 s18, 0xbbc4b3a8
	v_pk_mul_f16 v3, v3, s18
	v_pk_fma_f16 v5, v45, s17, v3 neg_lo:[1,0,0] neg_hi:[1,0,0]
	v_pk_fma_f16 v63, v45, s17, v3
	v_pk_fma_f16 v3, v45, s17, v3 neg_lo:[0,0,1] neg_hi:[0,0,1]
	v_add_f16_e32 v2, v2, v43
	v_add_f16_sdwa v0, v0, v43 dst_sel:WORD_1 dst_unused:UNUSED_PAD src0_sel:DWORD src1_sel:WORD_1
	v_add_f16_e32 v44, v44, v4
	v_add_f16_sdwa v45, v47, v4 dst_sel:DWORD dst_unused:UNUSED_PAD src0_sel:DWORD src1_sel:WORD_1
	v_add_f16_e32 v47, v34, v4
	v_add_f16_sdwa v46, v46, v4 dst_sel:DWORD dst_unused:UNUSED_PAD src0_sel:DWORD src1_sel:WORD_1
	;; [unrolled: 2-line block ×10, first 2 shown]
	v_pk_add_f16 v5, v5, v4 op_sel:[0,1] op_sel_hi:[1,0]
	v_pk_add_f16 v63, v63, v4 op_sel:[0,1] op_sel_hi:[1,0]
	;; [unrolled: 1-line block ×3, first 2 shown]
	v_add_f16_e32 v4, v9, v8
	v_add_f16_sdwa v64, v9, v8 dst_sel:DWORD dst_unused:UNUSED_PAD src0_sel:WORD_1 src1_sel:WORD_1
	v_sub_f16_e32 v65, v8, v9
	v_sub_f16_sdwa v8, v8, v9 dst_sel:DWORD dst_unused:UNUSED_PAD src0_sel:WORD_1 src1_sel:WORD_1
	v_mul_lo_u16_e32 v9, 13, v32
	v_or_b32_e32 v0, v0, v2
	v_mul_f16_e32 v2, 0xba95, v18
	v_lshl_add_u32 v34, v9, 2, v16
	v_fma_f16 v9, v14, s13, -v2
	v_mul_f16_e32 v16, 0xba95, v17
	v_add_f16_e32 v9, v9, v44
	v_fma_f16 v43, v15, s13, v16
	v_fma_f16 v16, v15, s13, -v16
	v_mul_f16_e32 v44, 0xbb7b, v18
	v_add_f16_e32 v43, v43, v45
	v_fma_f16 v2, v14, s13, v2
	v_add_f16_e32 v16, v16, v46
	v_fma_f16 v45, v14, s14, -v44
	v_mul_f16_e32 v46, 0xbb7b, v17
	v_fma_f16 v44, v14, s14, v44
	v_add_f16_e32 v2, v2, v47
	v_fma_f16 v47, v15, s14, v46
	v_add_f16_e32 v44, v44, v48
	v_fma_f16 v46, v15, s14, -v46
	s_mov_b32 s17, 0xbbc4
	v_mul_f16_e32 v48, 0xb3a8, v18
	v_add_f16_e32 v45, v45, v49
	v_add_f16_e32 v46, v46, v50
	v_fma_f16 v49, v14, s17, -v48
	v_mul_f16_e32 v50, 0xb3a8, v17
	v_fma_f16 v48, v14, s17, v48
	v_add_f16_e32 v47, v47, v51
	v_fma_f16 v51, v15, s17, v50
	v_add_f16_e32 v48, v48, v52
	v_fma_f16 v50, v15, s17, -v50
	v_mul_f16_e32 v52, 0x394e, v18
	v_add_f16_e32 v49, v49, v53
	v_add_f16_e32 v50, v50, v54
	v_fma_f16 v53, v14, s16, -v52
	v_mul_f16_e32 v54, 0x394e, v17
	v_fma_f16 v52, v14, s16, v52
	v_add_f16_e32 v51, v51, v55
	v_fma_f16 v55, v15, s16, v54
	v_add_f16_e32 v52, v52, v56
	v_fma_f16 v54, v15, s16, -v54
	v_mul_f16_e32 v56, 0x3bf1, v18
	v_add_f16_e32 v53, v53, v57
	v_add_f16_e32 v54, v54, v58
	v_fma_f16 v57, v14, s12, -v56
	v_mul_f16_e32 v58, 0x3bf1, v17
	v_fma_f16 v56, v14, s12, v56
	v_pack_b32_f16 v14, v17, v14
	s_mov_b32 s19, 0x3b153770
	v_add_f16_e32 v55, v55, v59
	v_fma_f16 v59, v15, s12, v58
	v_add_f16_e32 v6, v56, v6
	v_fma_f16 v56, v15, s12, -v58
	v_pack_b32_f16 v15, v15, v18
	s_mov_b32 s18, 0x37703b15
	v_pk_mul_f16 v14, v14, s19
	v_pk_fma_f16 v17, v15, s18, v14 neg_lo:[1,0,0] neg_hi:[1,0,0]
	v_pk_add_f16 v5, v17, v5
	v_pk_fma_f16 v17, v15, s18, v14
	v_pk_fma_f16 v14, v15, s18, v14 neg_lo:[0,0,1] neg_hi:[0,0,1]
	v_pk_add_f16 v3, v14, v3
	v_mul_f16_e32 v14, 0xbbf1, v1
	v_fma_f16 v15, v42, s12, -v14
	v_add_f16_e32 v9, v15, v9
	v_mul_f16_e32 v15, 0xbbf1, v11
	v_fma_f16 v14, v42, s12, v14
	v_fma_f16 v18, v10, s12, v15
	v_add_f16_e32 v2, v14, v2
	v_fma_f16 v14, v10, s12, -v15
	v_mul_f16_e32 v15, 0xb3a8, v1
	v_add_f16_e32 v18, v18, v43
	v_add_f16_e32 v14, v14, v16
	v_fma_f16 v16, v42, s17, -v15
	v_mul_f16_e32 v43, 0xb3a8, v11
	v_fma_f16 v15, v42, s17, v15
	v_add_f16_e32 v16, v16, v45
	v_fma_f16 v45, v10, s17, v43
	v_add_f16_e32 v15, v15, v44
	v_fma_f16 v43, v10, s17, -v43
	v_mul_f16_e32 v44, 0x3b7b, v1
	v_add_f16_e32 v45, v45, v47
	v_add_f16_e32 v43, v43, v46
	v_fma_f16 v46, v42, s14, -v44
	v_mul_f16_e32 v47, 0x3b7b, v11
	v_fma_f16 v44, v42, s14, v44
	v_add_f16_e32 v46, v46, v49
	;; [unrolled: 10-line block ×3, first 2 shown]
	v_fma_f16 v53, v10, s15, v51
	v_add_f16_e32 v48, v48, v52
	v_fma_f16 v51, v10, s15, -v51
	v_mul_f16_e32 v52, 0xba95, v1
	v_add_f16_e32 v57, v57, v62
	v_add_f16_e32 v53, v53, v55
	;; [unrolled: 1-line block ×3, first 2 shown]
	v_fma_f16 v54, v42, s13, -v52
	v_mul_f16_e32 v55, 0xba95, v11
	v_fma_f16 v52, v42, s13, v52
	v_add_f16_e32 v54, v54, v57
	v_fma_f16 v57, v10, s13, v55
	v_add_f16_e32 v6, v52, v6
	v_fma_f16 v52, v10, s13, -v55
	v_pack_b32_f16 v1, v10, v1
	v_pack_b32_f16 v10, v11, v42
	s_mov_b32 s19, 0xb9fdb94e
	s_mov_b32 s18, 0xb94eb9fd
	v_pk_mul_f16 v10, v10, s19
	v_pk_fma_f16 v11, v1, s18, v10 neg_lo:[1,0,0] neg_hi:[1,0,0]
	v_pk_add_f16 v5, v11, v5
	v_pk_fma_f16 v11, v1, s18, v10
	v_pk_fma_f16 v1, v1, s18, v10 neg_lo:[0,0,1] neg_hi:[0,0,1]
	v_pk_add_f16 v1, v1, v3
	v_mul_f16_e32 v3, 0xbb7b, v38
	v_fma_f16 v10, v35, s14, -v3
	v_pk_add_f16 v17, v17, v63
	v_add_f16_e32 v9, v10, v9
	v_mul_f16_e32 v10, 0xbb7b, v37
	v_fma_f16 v3, v35, s14, v3
	v_pk_add_f16 v11, v11, v17
	v_fma_f16 v17, v36, s14, v10
	v_add_f16_e32 v2, v3, v2
	v_fma_f16 v3, v36, s14, -v10
	v_mul_f16_e32 v10, 0x394e, v38
	v_add_f16_e32 v3, v3, v14
	v_fma_f16 v14, v35, s16, -v10
	v_add_f16_e32 v14, v14, v16
	v_mul_f16_e32 v16, 0x394e, v37
	v_fma_f16 v10, v35, s16, v10
	v_add_f16_e32 v17, v17, v18
	v_fma_f16 v18, v36, s16, v16
	v_add_f16_e32 v10, v10, v15
	v_fma_f16 v15, v36, s16, -v16
	v_mul_f16_e32 v16, 0x3770, v38
	v_add_f16_e32 v15, v15, v43
	v_fma_f16 v42, v35, s15, -v16
	v_mul_f16_e32 v43, 0x3770, v37
	v_fma_f16 v16, v35, s15, v16
	v_add_f16_e32 v18, v18, v45
	v_fma_f16 v45, v36, s15, v43
	v_add_f16_e32 v16, v16, v44
	v_fma_f16 v43, v36, s15, -v43
	v_mul_f16_e32 v44, 0xbbf1, v38
	v_add_f16_e32 v42, v42, v46
	v_add_f16_e32 v43, v43, v47
	v_fma_f16 v46, v35, s12, -v44
	v_mul_f16_e32 v47, 0xbbf1, v37
	v_fma_f16 v44, v35, s12, v44
	v_add_f16_e32 v45, v45, v49
	v_fma_f16 v49, v36, s12, v47
	v_add_f16_e32 v44, v44, v48
	v_fma_f16 v47, v36, s12, -v47
	v_mul_f16_e32 v48, 0x33a8, v38
	v_add_f16_e32 v46, v46, v50
	v_add_f16_e32 v47, v47, v51
	v_fma_f16 v50, v35, s17, -v48
	v_mul_f16_e32 v51, 0x33a8, v37
	v_fma_f16 v48, v35, s17, v48
	v_pack_b32_f16 v35, v37, v35
	s_mov_b32 s19, 0x388b3a95
	v_add_f16_e32 v49, v49, v53
	v_fma_f16 v53, v36, s17, v51
	v_add_f16_e32 v6, v48, v6
	v_fma_f16 v48, v36, s17, -v51
	v_pack_b32_f16 v36, v36, v38
	s_mov_b32 s18, 0x3a95388b
	v_pk_mul_f16 v35, v35, s19
	v_pk_fma_f16 v37, v36, s18, v35 neg_lo:[1,0,0] neg_hi:[1,0,0]
	v_pk_add_f16 v5, v37, v5
	v_pk_fma_f16 v37, v36, s18, v35
	v_pk_fma_f16 v35, v36, s18, v35 neg_lo:[0,0,1] neg_hi:[0,0,1]
	v_pk_add_f16 v1, v35, v1
	v_mul_f16_e32 v35, 0xb94e, v7
	v_fma_f16 v36, v39, s16, -v35
	v_add_f16_e32 v9, v36, v9
	v_mul_f16_e32 v36, 0xb94e, v41
	v_fma_f16 v35, v39, s16, v35
	v_add_f16_e32 v2, v35, v2
	v_fma_f16 v35, v40, s16, -v36
	v_add_f16_e32 v3, v35, v3
	v_mul_f16_e32 v35, 0x3bf1, v7
	v_pk_add_f16 v11, v37, v11
	v_fma_f16 v37, v40, s16, v36
	v_fma_f16 v36, v39, s12, -v35
	v_add_f16_e32 v14, v36, v14
	v_mul_f16_e32 v36, 0x3bf1, v41
	v_fma_f16 v35, v39, s12, v35
	v_add_f16_e32 v10, v35, v10
	v_fma_f16 v35, v40, s12, -v36
	v_add_f16_e32 v17, v37, v17
	v_fma_f16 v37, v40, s12, v36
	v_add_f16_e32 v15, v35, v15
	v_mul_f16_e32 v35, 0xba95, v7
	v_add_f16_e32 v18, v37, v18
	v_fma_f16 v36, v39, s13, -v35
	v_mul_f16_e32 v37, 0xba95, v41
	v_fma_f16 v35, v39, s13, v35
	v_fma_f16 v38, v40, s13, v37
	v_add_f16_e32 v16, v35, v16
	v_fma_f16 v35, v40, s13, -v37
	v_mul_f16_e32 v37, 0x33a8, v7
	v_add_f16_e32 v36, v36, v42
	v_fma_f16 v42, v39, s17, -v37
	v_fma_f16 v37, v39, s17, v37
	v_add_f16_e32 v35, v35, v43
	v_mul_f16_e32 v43, 0x33a8, v41
	v_add_f16_e32 v37, v37, v44
	v_mul_f16_e32 v44, 0x3770, v7
	v_add_f16_e32 v38, v38, v45
	v_add_f16_e32 v42, v42, v46
	v_fma_f16 v45, v40, s17, v43
	v_fma_f16 v43, v40, s17, -v43
	v_fma_f16 v46, v39, s15, -v44
	v_fma_f16 v44, v39, s15, v44
	v_pack_b32_f16 v39, v41, v39
	s_mov_b32 s19, 0xb5acbb7b
	v_add_f16_e32 v43, v43, v47
	v_mul_f16_e32 v47, 0x3770, v41
	v_pack_b32_f16 v7, v40, v7
	s_mov_b32 s18, 0xbb7bb5ac
	v_pk_mul_f16 v39, v39, s19
	v_add_f16_e32 v45, v45, v49
	v_fma_f16 v49, v40, s15, v47
	v_add_f16_e32 v6, v44, v6
	v_fma_f16 v44, v40, s15, -v47
	v_pk_fma_f16 v40, v7, s18, v39 neg_lo:[1,0,0] neg_hi:[1,0,0]
	v_pk_add_f16 v5, v40, v5
	v_pk_fma_f16 v40, v7, s18, v39
	v_pk_fma_f16 v7, v7, s18, v39 neg_lo:[0,0,1] neg_hi:[0,0,1]
	v_pk_add_f16 v1, v7, v1
	v_mul_f16_e32 v7, 0xb3a8, v8
	v_fma_f16 v39, v4, s17, -v7
	v_add_f16_e32 v9, v39, v9
	v_mul_f16_e32 v39, 0xb3a8, v65
	v_fma_f16 v7, v4, s17, v7
	v_add_f16_e32 v2, v7, v2
	v_fma_f16 v7, v64, s17, -v39
	v_add_f16_e32 v3, v7, v3
	v_mul_f16_e32 v7, 0x3770, v8
	v_pk_add_f16 v11, v40, v11
	v_fma_f16 v40, v64, s17, v39
	v_fma_f16 v39, v4, s15, -v7
	v_add_f16_e32 v14, v39, v14
	v_mul_f16_e32 v39, 0x3770, v65
	v_fma_f16 v7, v4, s15, v7
	v_add_f16_e32 v7, v7, v10
	v_fma_f16 v10, v64, s15, -v39
	v_add_f16_e32 v10, v10, v15
	v_mul_f16_e32 v15, 0xb94e, v8
	v_add_f16_e32 v17, v40, v17
	v_fma_f16 v40, v64, s15, v39
	v_fma_f16 v39, v4, s16, -v15
	v_add_f16_e32 v36, v39, v36
	v_mul_f16_e32 v39, 0xb94e, v65
	v_fma_f16 v15, v4, s16, v15
	v_add_f16_e32 v15, v15, v16
	v_fma_f16 v16, v64, s16, -v39
	v_add_f16_e32 v18, v40, v18
	v_fma_f16 v40, v64, s16, v39
	v_add_f16_e32 v16, v16, v35
	v_mul_f16_e32 v35, 0x3a95, v8
	v_add_f16_e32 v38, v40, v38
	v_fma_f16 v39, v4, s13, -v35
	v_mul_f16_e32 v40, 0x3a95, v65
	v_fma_f16 v35, v4, s13, v35
	v_fma_f16 v41, v64, s13, v40
	v_add_f16_e32 v35, v35, v37
	v_fma_f16 v37, v64, s13, -v40
	v_mul_f16_e32 v40, 0xbb7b, v8
	v_add_f16_e32 v39, v39, v42
	v_fma_f16 v42, v4, s14, -v40
	v_fma_f16 v40, v4, s14, v40
	v_pack_b32_f16 v4, v65, v4
	s_mov_b32 s19, 0x2fb73bf1
	v_add_f16_e32 v59, v59, v61
	v_add_f16_e32 v37, v37, v43
	v_mul_f16_e32 v43, 0xbb7b, v65
	v_pack_b32_f16 v8, v64, v8
	s_mov_b32 s18, 0x3bf12fb7
	v_pk_mul_f16 v4, v4, s19
	v_add_f16_e32 v57, v57, v59
	v_add_f16_e32 v41, v41, v45
	v_fma_f16 v45, v64, s14, v43
	v_add_f16_e32 v6, v40, v6
	v_fma_f16 v40, v64, s14, -v43
	v_pk_fma_f16 v43, v8, s18, v4 neg_lo:[1,0,0] neg_hi:[1,0,0]
	v_add_f16_e32 v56, v56, v60
	v_add_f16_e32 v50, v50, v54
	;; [unrolled: 1-line block ×3, first 2 shown]
	v_pk_add_f16 v5, v43, v5
	v_pk_fma_f16 v43, v8, s18, v4
	v_pk_fma_f16 v4, v8, s18, v4 neg_lo:[0,0,1] neg_hi:[0,0,1]
	v_add_f16_e32 v52, v52, v56
	v_add_f16_e32 v46, v46, v50
	;; [unrolled: 1-line block ×3, first 2 shown]
	v_pk_add_f16 v1, v4, v1
	v_pack_b32_f16 v4, v14, v18
	v_pack_b32_f16 v8, v9, v17
	v_add_f16_e32 v48, v48, v52
	v_add_f16_e32 v42, v42, v46
	;; [unrolled: 1-line block ×3, first 2 shown]
	s_barrier
	ds_write2_b32 v34, v8, v4 offset0:1 offset1:2
	v_pack_b32_f16 v4, v39, v41
	v_pack_b32_f16 v8, v36, v38
	v_add_f16_e32 v44, v44, v48
	v_pk_add_f16 v11, v43, v11
	ds_write2_b32 v34, v8, v4 offset0:3 offset1:4
	v_pack_b32_f16 v4, v42, v45
	v_add_f16_e32 v40, v40, v44
	ds_write2_b32 v34, v0, v4 offset1:5
	v_alignbit_b32 v0, v1, v11, 16
	v_alignbit_b32 v1, v11, v5, 16
	ds_write2_b32 v34, v1, v0 offset0:6 offset1:7
	v_pack_b32_f16 v0, v35, v37
	v_pack_b32_f16 v1, v6, v40
	ds_write2_b32 v34, v1, v0 offset0:8 offset1:9
	v_pack_b32_f16 v0, v7, v10
	v_pack_b32_f16 v1, v15, v16
	ds_write2_b32 v34, v1, v0 offset0:10 offset1:11
	v_pack_b32_f16 v0, v2, v3
	ds_write_b32 v34, v0 offset:48
	v_mul_u32_u24_e32 v0, 12, v32
	v_lshlrev_b32_e32 v8, 2, v0
	s_waitcnt lgkmcnt(0)
	s_barrier
	global_load_dwordx4 v[0:3], v8, s[2:3]
	global_load_dwordx4 v[4:7], v8, s[2:3] offset:32
	ds_read2_b32 v[14:15], v20 offset1:13
	ds_read_b32 v16, v20 offset:624
	global_load_dwordx4 v[8:11], v8, s[2:3] offset:16
	s_movk_i32 s18, 0x3770
	s_movk_i32 s3, 0x3a95
	s_waitcnt lgkmcnt(1)
	v_lshrrev_b32_e32 v17, 16, v15
	s_waitcnt lgkmcnt(0)
	v_lshrrev_b32_e32 v18, 16, v16
	s_mov_b32 s2, 0xbb7b
	s_movk_i32 s19, 0x3bf1
	s_movk_i32 s22, 0x394e
	s_mov_b32 s23, 0xb94e
	s_mov_b32 s24, 0x1000504
	s_load_dwordx2 s[4:5], s[4:5], 0x38
	s_waitcnt vmcnt(2)
	v_mul_f16_sdwa v35, v17, v0 dst_sel:DWORD dst_unused:UNUSED_PAD src0_sel:DWORD src1_sel:WORD_1
	v_fma_f16 v35, v15, v0, -v35
	v_mul_f16_sdwa v15, v15, v0 dst_sel:DWORD dst_unused:UNUSED_PAD src0_sel:DWORD src1_sel:WORD_1
	v_fma_f16 v15, v17, v0, v15
	s_waitcnt vmcnt(1)
	v_mul_f16_sdwa v17, v18, v7 dst_sel:DWORD dst_unused:UNUSED_PAD src0_sel:DWORD src1_sel:WORD_1
	v_fma_f16 v48, v16, v7, -v17
	v_mul_f16_sdwa v16, v16, v7 dst_sel:DWORD dst_unused:UNUSED_PAD src0_sel:DWORD src1_sel:WORD_1
	v_fma_f16 v49, v18, v7, v16
	v_sub_f16_e32 v17, v15, v49
	v_add_f16_e32 v16, v35, v48
	v_mul_f16_e32 v37, 0xba95, v17
	v_fma_f16 v38, v16, s13, -v37
	v_fma_f16 v39, v16, s13, v37
	v_mul_f16_e32 v37, 0xbbf1, v17
	v_fma_f16 v40, v16, s12, -v37
	v_fma_f16 v41, v16, s12, v37
	v_mul_f16_e32 v37, 0xbb7b, v17
	v_mul_f16_e32 v18, 0xb770, v17
	v_fma_f16 v42, v16, s14, -v37
	v_fma_f16 v43, v16, s14, v37
	v_mul_f16_e32 v37, 0xb94e, v17
	v_mul_f16_e32 v17, 0xb3a8, v17
	v_fma_f16 v46, v16, s17, -v17
	v_fma_f16 v47, v16, s17, v17
	v_sub_f16_e32 v17, v35, v48
	v_fma_f16 v36, v16, s15, -v18
	v_fma_f16 v18, v16, s15, v18
	v_fma_f16 v44, v16, s16, -v37
	v_fma_f16 v45, v16, s16, v37
	v_add_f16_e32 v16, v15, v49
	v_mul_f16_e32 v37, 0xb770, v17
	v_fma_f16 v50, v16, s15, v37
	v_fma_f16 v51, v16, s15, -v37
	v_mul_f16_e32 v37, 0xba95, v17
	v_fma_f16 v52, v16, s13, v37
	v_fma_f16 v53, v16, s13, -v37
	;; [unrolled: 3-line block ×5, first 2 shown]
	v_add_f16_sdwa v63, v15, v14 dst_sel:DWORD dst_unused:UNUSED_PAD src0_sel:DWORD src1_sel:WORD_1
	v_add_f16_e32 v37, v18, v14
	v_add_f16_sdwa v15, v51, v14 dst_sel:DWORD dst_unused:UNUSED_PAD src0_sel:DWORD src1_sel:WORD_1
	v_add_f16_e32 v51, v38, v14
	v_add_f16_e32 v38, v39, v14
	;; [unrolled: 1-line block ×3, first 2 shown]
	v_add_f16_sdwa v18, v57, v14 dst_sel:DWORD dst_unused:UNUSED_PAD src0_sel:DWORD src1_sel:WORD_1
	v_add_f16_e32 v57, v44, v14
	v_add_f16_e32 v41, v45, v14
	ds_read2_b32 v[44:45], v20 offset0:26 offset1:39
	v_mul_f16_e32 v17, 0xb3a8, v17
	v_fma_f16 v60, v16, s17, v17
	v_fma_f16 v61, v16, s17, -v17
	v_add_f16_e32 v64, v36, v14
	v_add_f16_sdwa v16, v53, v14 dst_sel:DWORD dst_unused:UNUSED_PAD src0_sel:DWORD src1_sel:WORD_1
	v_add_f16_e32 v53, v40, v14
	v_add_f16_e32 v40, v43, v14
	;; [unrolled: 1-line block ×4, first 2 shown]
	s_waitcnt lgkmcnt(0)
	v_lshrrev_b32_e32 v46, 16, v44
	v_mul_f16_sdwa v47, v44, v1 dst_sel:DWORD dst_unused:UNUSED_PAD src0_sel:DWORD src1_sel:WORD_1
	v_add_f16_e32 v62, v35, v14
	v_add_f16_sdwa v35, v59, v14 dst_sel:DWORD dst_unused:UNUSED_PAD src0_sel:DWORD src1_sel:WORD_1
	v_fma_f16 v59, v46, v1, v47
	v_mul_f16_sdwa v46, v46, v1 dst_sel:DWORD dst_unused:UNUSED_PAD src0_sel:DWORD src1_sel:WORD_1
	v_add_f16_sdwa v17, v55, v14 dst_sel:DWORD dst_unused:UNUSED_PAD src0_sel:DWORD src1_sel:WORD_1
	v_add_f16_e32 v55, v42, v14
	v_add_f16_sdwa v42, v60, v14 dst_sel:DWORD dst_unused:UNUSED_PAD src0_sel:DWORD src1_sel:WORD_1
	v_fma_f16 v60, v44, v1, -v46
	ds_read2_b32 v[46:47], v20 offset0:52 offset1:65
	v_lshrrev_b32_e32 v44, 16, v45
	v_add_f16_sdwa v50, v50, v14 dst_sel:DWORD dst_unused:UNUSED_PAD src0_sel:DWORD src1_sel:WORD_1
	v_add_f16_sdwa v52, v52, v14 dst_sel:DWORD dst_unused:UNUSED_PAD src0_sel:DWORD src1_sel:WORD_1
	;; [unrolled: 1-line block ×6, first 2 shown]
	v_mul_f16_sdwa v61, v44, v2 dst_sel:DWORD dst_unused:UNUSED_PAD src0_sel:DWORD src1_sel:WORD_1
	v_fma_f16 v61, v45, v2, -v61
	v_mul_f16_sdwa v45, v45, v2 dst_sel:DWORD dst_unused:UNUSED_PAD src0_sel:DWORD src1_sel:WORD_1
	v_fma_f16 v65, v44, v2, v45
	s_waitcnt lgkmcnt(0)
	v_lshrrev_b32_e32 v44, 16, v46
	v_mul_f16_sdwa v45, v46, v3 dst_sel:DWORD dst_unused:UNUSED_PAD src0_sel:DWORD src1_sel:WORD_1
	v_fma_f16 v66, v44, v3, v45
	v_mul_f16_sdwa v44, v44, v3 dst_sel:DWORD dst_unused:UNUSED_PAD src0_sel:DWORD src1_sel:WORD_1
	v_fma_f16 v67, v46, v3, -v44
	ds_read2_b32 v[44:45], v20 offset0:78 offset1:91
	v_lshrrev_b32_e32 v46, 16, v47
	s_waitcnt vmcnt(0)
	v_mul_f16_sdwa v68, v46, v8 dst_sel:DWORD dst_unused:UNUSED_PAD src0_sel:DWORD src1_sel:WORD_1
	v_fma_f16 v68, v47, v8, -v68
	v_mul_f16_sdwa v47, v47, v8 dst_sel:DWORD dst_unused:UNUSED_PAD src0_sel:DWORD src1_sel:WORD_1
	v_fma_f16 v69, v46, v8, v47
	s_waitcnt lgkmcnt(0)
	v_lshrrev_b32_e32 v46, 16, v44
	v_mul_f16_sdwa v47, v44, v9 dst_sel:DWORD dst_unused:UNUSED_PAD src0_sel:DWORD src1_sel:WORD_1
	v_fma_f16 v70, v46, v9, v47
	v_mul_f16_sdwa v46, v46, v9 dst_sel:DWORD dst_unused:UNUSED_PAD src0_sel:DWORD src1_sel:WORD_1
	v_fma_f16 v71, v44, v9, -v46
	ds_read2_b32 v[46:47], v20 offset0:104 offset1:117
	v_lshrrev_b32_e32 v44, 16, v45
	v_mul_f16_sdwa v72, v44, v10 dst_sel:DWORD dst_unused:UNUSED_PAD src0_sel:DWORD src1_sel:WORD_1
	v_fma_f16 v72, v45, v10, -v72
	v_mul_f16_sdwa v45, v45, v10 dst_sel:DWORD dst_unused:UNUSED_PAD src0_sel:DWORD src1_sel:WORD_1
	v_fma_f16 v73, v44, v10, v45
	s_waitcnt lgkmcnt(0)
	v_lshrrev_b32_e32 v44, 16, v46
	v_mul_f16_sdwa v45, v46, v11 dst_sel:DWORD dst_unused:UNUSED_PAD src0_sel:DWORD src1_sel:WORD_1
	v_fma_f16 v74, v44, v11, v45
	v_mul_f16_sdwa v44, v44, v11 dst_sel:DWORD dst_unused:UNUSED_PAD src0_sel:DWORD src1_sel:WORD_1
	v_fma_f16 v46, v46, v11, -v44
	ds_read2_b32 v[44:45], v20 offset0:130 offset1:143
	v_add_f16_e32 v62, v62, v60
	v_lshrrev_b32_e32 v75, 16, v47
	v_add_f16_e32 v62, v62, v61
	v_mul_f16_sdwa v76, v75, v4 dst_sel:DWORD dst_unused:UNUSED_PAD src0_sel:DWORD src1_sel:WORD_1
	v_add_f16_e32 v62, v62, v67
	v_fma_f16 v76, v47, v4, -v76
	v_mul_f16_sdwa v47, v47, v4 dst_sel:DWORD dst_unused:UNUSED_PAD src0_sel:DWORD src1_sel:WORD_1
	v_add_f16_e32 v62, v62, v68
	v_fma_f16 v47, v75, v4, v47
	s_waitcnt lgkmcnt(0)
	v_lshrrev_b32_e32 v75, 16, v44
	v_mul_f16_sdwa v77, v44, v5 dst_sel:DWORD dst_unused:UNUSED_PAD src0_sel:DWORD src1_sel:WORD_1
	v_add_f16_e32 v62, v62, v71
	v_fma_f16 v77, v75, v5, v77
	v_mul_f16_sdwa v75, v75, v5 dst_sel:DWORD dst_unused:UNUSED_PAD src0_sel:DWORD src1_sel:WORD_1
	v_add_f16_e32 v62, v62, v72
	v_fma_f16 v44, v44, v5, -v75
	v_lshrrev_b32_e32 v75, 16, v45
	v_add_f16_e32 v62, v62, v46
	v_mul_f16_sdwa v78, v75, v6 dst_sel:DWORD dst_unused:UNUSED_PAD src0_sel:DWORD src1_sel:WORD_1
	v_add_f16_e32 v62, v62, v76
	v_fma_f16 v78, v45, v6, -v78
	v_add_f16_e32 v62, v62, v44
	v_add_f16_e32 v62, v62, v78
	;; [unrolled: 1-line block ×10, first 2 shown]
	v_mul_f16_sdwa v45, v45, v6 dst_sel:DWORD dst_unused:UNUSED_PAD src0_sel:DWORD src1_sel:WORD_1
	v_add_f16_e32 v62, v62, v47
	v_fma_f16 v45, v75, v6, v45
	v_add_f16_e32 v62, v62, v77
	v_add_f16_e32 v62, v62, v45
	v_add_f16_sdwa v49, v62, v49 dst_sel:WORD_1 dst_unused:UNUSED_PAD src0_sel:DWORD src1_sel:DWORD
	v_add_f16_e32 v62, v59, v45
	v_sub_f16_e32 v45, v59, v45
	v_or_b32_e32 v48, v49, v48
	v_add_f16_e32 v49, v60, v78
	v_mul_f16_e32 v59, 0xba95, v45
	v_sub_f16_e32 v60, v60, v78
	v_fma_f16 v63, v49, s13, -v59
	v_add_f16_e32 v63, v63, v64
	v_mul_f16_e32 v64, 0xba95, v60
	v_fma_f16 v75, v62, s13, v64
	v_add_f16_e32 v50, v75, v50
	v_add_f16_e32 v75, v61, v44
	v_sub_f16_e32 v44, v61, v44
	v_add_f16_e32 v61, v65, v77
	v_sub_f16_e32 v65, v65, v77
	v_mul_f16_e32 v77, 0xbbf1, v65
	v_fma_f16 v78, v75, s12, -v77
	v_add_f16_e32 v63, v78, v63
	v_mul_f16_e32 v78, 0xbbf1, v44
	v_fma_f16 v79, v61, s12, v78
	v_add_f16_e32 v50, v79, v50
	v_add_f16_e32 v79, v67, v76
	v_sub_f16_e32 v67, v67, v76
	v_add_f16_e32 v76, v66, v47
	v_sub_f16_e32 v47, v66, v47
	v_mul_f16_e32 v66, 0xbb7b, v47
	;; [unrolled: 10-line block ×4, first 2 shown]
	v_fma_f16 v84, v83, s17, -v73
	v_add_f16_e32 v63, v84, v63
	v_mul_f16_e32 v84, 0xb3a8, v71
	v_fma_f16 v85, v72, s17, v84
	v_add_f16_e32 v50, v85, v50
	v_pack_b32_f16 v50, v63, v50
	ds_write2_b32 v20, v48, v50 offset1:13
	v_mul_f16_e32 v48, 0xbb7b, v45
	v_fma_f16 v50, v49, s14, -v48
	v_add_f16_e32 v50, v50, v51
	v_mul_f16_e32 v51, 0xbb7b, v60
	v_fma_f16 v63, v62, s14, v51
	v_add_f16_e32 v52, v63, v52
	v_mul_f16_e32 v63, 0xb3a8, v45
	v_fma_f16 v85, v49, s17, -v63
	v_add_f16_e32 v53, v85, v53
	v_mul_f16_e32 v85, 0xb3a8, v60
	v_fma_f16 v86, v62, s17, v85
	v_add_f16_e32 v54, v86, v54
	;; [unrolled: 6-line block ×10, first 2 shown]
	v_pack_b32_f16 v50, v50, v52
	v_pack_b32_f16 v52, v53, v54
	ds_write2_b32 v20, v50, v52 offset0:26 offset1:39
	v_mul_f16_e32 v50, 0x394e, v45
	v_fma_f16 v52, v49, s16, -v50
	v_mul_f16_e32 v53, 0x394e, v60
	v_add_f16_e32 v52, v52, v55
	v_fma_f16 v54, v62, s16, v53
	v_mul_f16_e32 v55, 0x3bf1, v45
	v_add_f16_e32 v54, v54, v56
	v_fma_f16 v56, v49, s12, -v55
	v_add_f16_e32 v56, v56, v57
	v_mul_f16_e32 v57, 0x3bf1, v60
	v_fma_f16 v102, v62, s12, v57
	v_add_f16_e32 v58, v102, v58
	v_mul_f16_e32 v102, 0x3770, v65
	v_fma_f16 v103, v75, s15, -v102
	v_add_f16_e32 v52, v103, v52
	v_mul_f16_e32 v103, 0x3770, v44
	v_fma_f16 v104, v61, s15, v103
	v_add_f16_e32 v54, v104, v54
	v_mul_f16_e32 v104, 0xba95, v65
	;; [unrolled: 6-line block ×7, first 2 shown]
	v_fma_f16 v48, v49, s14, v48
	v_fma_f16 v115, v83, s13, -v114
	v_add_f16_e32 v38, v48, v38
	v_fma_f16 v48, v62, s14, -v51
	v_add_f16_e32 v52, v115, v52
	v_mul_f16_e32 v115, 0x3a95, v71
	v_add_f16_e32 v16, v48, v16
	v_fma_f16 v48, v49, s17, v63
	v_fma_f16 v116, v72, s13, v115
	v_add_f16_e32 v39, v48, v39
	v_fma_f16 v48, v62, s17, -v85
	v_add_f16_e32 v54, v116, v54
	v_mul_f16_e32 v116, 0xbb7b, v70
	v_add_f16_e32 v17, v48, v17
	v_fma_f16 v48, v49, s16, v50
	v_fma_f16 v117, v83, s14, -v116
	v_add_f16_e32 v40, v48, v40
	v_fma_f16 v48, v62, s16, -v53
	v_add_f16_e32 v56, v117, v56
	v_mul_f16_e32 v117, 0xbb7b, v71
	v_add_f16_e32 v18, v48, v18
	v_fma_f16 v48, v49, s12, v55
	v_fma_f16 v118, v72, s14, v117
	v_add_f16_e32 v41, v48, v41
	v_fma_f16 v48, v62, s12, -v57
	v_mul_f16_e32 v45, 0x3770, v45
	v_add_f16_e32 v58, v118, v58
	v_add_f16_e32 v35, v48, v35
	v_fma_f16 v48, v49, s15, -v45
	v_pack_b32_f16 v52, v52, v54
	v_pack_b32_f16 v54, v56, v58
	v_add_f16_e32 v43, v48, v43
	v_mul_f16_e32 v48, 0x3770, v60
	v_fma_f16 v45, v49, s15, v45
	ds_write2_b32 v20, v52, v54 offset0:52 offset1:65
	v_fma_f16 v52, v49, s13, v59
	v_add_f16_e32 v36, v45, v36
	v_fma_f16 v45, v62, s15, -v48
	v_add_f16_e32 v37, v52, v37
	v_fma_f16 v52, v62, s13, -v64
	v_add_f16_e32 v14, v45, v14
	v_fma_f16 v45, v75, s12, v77
	v_add_f16_e32 v15, v52, v15
	v_add_f16_e32 v37, v45, v37
	v_fma_f16 v45, v61, s12, -v78
	v_add_f16_e32 v15, v45, v15
	v_fma_f16 v45, v75, s17, v86
	v_add_f16_e32 v38, v45, v38
	v_fma_f16 v45, v61, s17, -v87
	v_add_f16_e32 v16, v45, v16
	v_fma_f16 v45, v75, s14, v88
	;; [unrolled: 4-line block ×4, first 2 shown]
	v_add_f16_e32 v41, v45, v41
	v_fma_f16 v45, v61, s13, -v105
	v_add_f16_e32 v35, v45, v35
	v_mul_f16_e32 v45, 0xb94e, v65
	v_fma_f16 v50, v62, s15, v48
	v_fma_f16 v48, v75, s16, -v45
	v_mul_f16_e32 v44, 0xb94e, v44
	v_add_f16_e32 v43, v48, v43
	v_fma_f16 v48, v61, s16, v44
	v_fma_f16 v44, v61, s16, -v44
	v_add_f16_e32 v14, v44, v14
	v_fma_f16 v44, v79, s14, v66
	v_add_f16_e32 v37, v44, v37
	v_fma_f16 v44, v76, s14, -v80
	v_add_f16_e32 v15, v44, v15
	v_fma_f16 v44, v79, s16, v90
	v_add_f16_e32 v38, v44, v38
	;; [unrolled: 4-line block ×5, first 2 shown]
	v_fma_f16 v44, v76, s17, -v109
	v_fma_f16 v45, v75, s16, v45
	v_add_f16_e32 v35, v44, v35
	v_mul_f16_e32 v44, 0x3a95, v47
	v_add_f16_e32 v36, v45, v36
	v_fma_f16 v45, v79, s13, -v44
	v_add_f16_e32 v43, v45, v43
	v_mul_f16_e32 v45, 0x3a95, v67
	v_fma_f16 v44, v79, s13, v44
	v_add_f16_e32 v36, v44, v36
	v_fma_f16 v44, v76, s13, -v45
	v_add_f16_e32 v14, v44, v14
	v_fma_f16 v44, v81, s16, v74
	v_add_f16_e32 v37, v44, v37
	v_fma_f16 v44, v68, s16, -v82
	v_add_f16_e32 v15, v44, v15
	;; [unrolled: 4-line block ×6, first 2 shown]
	v_mul_f16_e32 v44, 0xbb7b, v69
	v_fma_f16 v47, v76, s13, v45
	v_fma_f16 v45, v81, s14, -v44
	v_add_f16_e32 v43, v45, v43
	v_mul_f16_e32 v45, 0xbb7b, v46
	v_fma_f16 v44, v81, s14, v44
	v_add_f16_e32 v36, v44, v36
	v_fma_f16 v44, v68, s14, -v45
	v_add_f16_e32 v14, v44, v14
	v_fma_f16 v44, v83, s17, v73
	v_add_f16_e32 v37, v44, v37
	v_fma_f16 v44, v72, s17, -v84
	v_add_f16_e32 v15, v44, v15
	;; [unrolled: 4-line block ×6, first 2 shown]
	v_add_f16_e32 v35, v44, v35
	v_mul_f16_e32 v44, 0x3bf1, v70
	v_add_f16_e32 v42, v48, v42
	v_fma_f16 v46, v68, s14, v45
	v_fma_f16 v45, v83, s12, -v44
	v_add_f16_e32 v42, v47, v42
	v_add_f16_e32 v43, v45, v43
	v_mul_f16_e32 v45, 0x3bf1, v71
	v_fma_f16 v44, v83, s12, v44
	v_add_f16_e32 v42, v46, v42
	v_fma_f16 v46, v72, s12, v45
	v_add_f16_e32 v36, v44, v36
	v_fma_f16 v44, v72, s12, -v45
	v_add_f16_e32 v42, v46, v42
	v_add_f16_e32 v14, v44, v14
	v_pack_b32_f16 v42, v43, v42
	v_pack_b32_f16 v14, v36, v14
	ds_write2_b32 v20, v42, v14 offset0:78 offset1:91
	v_pack_b32_f16 v14, v41, v35
	v_pack_b32_f16 v18, v40, v18
	ds_write2_b32 v20, v14, v18 offset0:104 offset1:117
	;; [unrolled: 3-line block ×3, first 2 shown]
	v_pack_b32_f16 v14, v37, v15
	ds_write_b32 v20, v14 offset:624
	s_waitcnt lgkmcnt(0)
	s_barrier
	global_load_dword v16, v13, s[0:1] offset:676
	global_load_dword v17, v13, s[6:7] offset:52
	;; [unrolled: 1-line block ×13, first 2 shown]
	ds_read2_b32 v[14:15], v20 offset1:13
	s_mov_b32 s1, 0xb770
	s_mov_b32 s0, 0xba95
	s_movk_i32 s7, 0x3b7b
	s_mov_b32 s6, 0xbbf1
	s_waitcnt lgkmcnt(0)
	v_lshrrev_b32_e32 v44, 16, v14
	s_waitcnt vmcnt(12)
	v_mul_f16_sdwa v13, v44, v16 dst_sel:DWORD dst_unused:UNUSED_PAD src0_sel:DWORD src1_sel:WORD_1
	v_fma_f16 v13, v14, v16, -v13
	v_mul_f16_sdwa v14, v14, v16 dst_sel:DWORD dst_unused:UNUSED_PAD src0_sel:DWORD src1_sel:WORD_1
	v_fma_f16 v14, v44, v16, v14
	v_lshrrev_b32_e32 v44, 16, v15
	v_pack_b32_f16 v16, v13, v14
	s_waitcnt vmcnt(11)
	v_mul_f16_sdwa v13, v44, v17 dst_sel:DWORD dst_unused:UNUSED_PAD src0_sel:DWORD src1_sel:WORD_1
	v_fma_f16 v46, v15, v17, -v13
	ds_read2_b32 v[13:14], v20 offset0:26 offset1:39
	v_mul_f16_sdwa v15, v15, v17 dst_sel:DWORD dst_unused:UNUSED_PAD src0_sel:DWORD src1_sel:WORD_1
	v_fma_f16 v15, v44, v17, v15
	v_pack_b32_f16 v15, v46, v15
	ds_write2_b32 v20, v16, v15 offset1:13
	s_waitcnt lgkmcnt(1)
	v_lshrrev_b32_e32 v15, 16, v13
	s_waitcnt vmcnt(10)
	v_mul_f16_sdwa v16, v13, v18 dst_sel:DWORD dst_unused:UNUSED_PAD src0_sel:DWORD src1_sel:WORD_1
	v_fma_f16 v16, v15, v18, v16
	v_mul_f16_sdwa v15, v15, v18 dst_sel:DWORD dst_unused:UNUSED_PAD src0_sel:DWORD src1_sel:WORD_1
	v_lshrrev_b32_e32 v17, 16, v14
	v_fma_f16 v13, v13, v18, -v15
	s_waitcnt vmcnt(9)
	v_mul_f16_sdwa v15, v17, v35 dst_sel:DWORD dst_unused:UNUSED_PAD src0_sel:DWORD src1_sel:WORD_1
	v_pack_b32_f16 v13, v13, v16
	v_fma_f16 v18, v14, v35, -v15
	ds_read2_b32 v[15:16], v20 offset0:52 offset1:65
	v_mul_f16_sdwa v14, v14, v35 dst_sel:DWORD dst_unused:UNUSED_PAD src0_sel:DWORD src1_sel:WORD_1
	v_fma_f16 v14, v17, v35, v14
	v_pack_b32_f16 v14, v18, v14
	ds_write2_b32 v20, v13, v14 offset0:26 offset1:39
	s_waitcnt lgkmcnt(1)
	v_lshrrev_b32_e32 v13, 16, v15
	s_waitcnt vmcnt(8)
	v_mul_f16_sdwa v14, v13, v36 dst_sel:DWORD dst_unused:UNUSED_PAD src0_sel:DWORD src1_sel:WORD_1
	v_fma_f16 v14, v15, v36, -v14
	v_mul_f16_sdwa v15, v15, v36 dst_sel:DWORD dst_unused:UNUSED_PAD src0_sel:DWORD src1_sel:WORD_1
	v_fma_f16 v13, v13, v36, v15
	v_lshrrev_b32_e32 v17, 16, v16
	v_pack_b32_f16 v15, v14, v13
	s_waitcnt vmcnt(7)
	v_mul_f16_sdwa v13, v17, v37 dst_sel:DWORD dst_unused:UNUSED_PAD src0_sel:DWORD src1_sel:WORD_1
	v_fma_f16 v18, v16, v37, -v13
	ds_read2_b32 v[13:14], v20 offset0:78 offset1:91
	v_mul_f16_sdwa v16, v16, v37 dst_sel:DWORD dst_unused:UNUSED_PAD src0_sel:DWORD src1_sel:WORD_1
	v_fma_f16 v16, v17, v37, v16
	v_pack_b32_f16 v16, v18, v16
	ds_write2_b32 v20, v15, v16 offset0:52 offset1:65
	s_waitcnt lgkmcnt(1)
	v_lshrrev_b32_e32 v15, 16, v13
	s_waitcnt vmcnt(6)
	v_mul_f16_sdwa v16, v15, v38 dst_sel:DWORD dst_unused:UNUSED_PAD src0_sel:DWORD src1_sel:WORD_1
	v_fma_f16 v16, v13, v38, -v16
	v_mul_f16_sdwa v13, v13, v38 dst_sel:DWORD dst_unused:UNUSED_PAD src0_sel:DWORD src1_sel:WORD_1
	v_lshrrev_b32_e32 v17, 16, v14
	v_fma_f16 v13, v15, v38, v13
	s_waitcnt vmcnt(5)
	v_mul_f16_sdwa v15, v17, v39 dst_sel:DWORD dst_unused:UNUSED_PAD src0_sel:DWORD src1_sel:WORD_1
	v_pack_b32_f16 v13, v16, v13
	v_fma_f16 v18, v14, v39, -v15
	ds_read2_b32 v[15:16], v20 offset0:104 offset1:117
	v_mul_f16_sdwa v14, v14, v39 dst_sel:DWORD dst_unused:UNUSED_PAD src0_sel:DWORD src1_sel:WORD_1
	v_fma_f16 v14, v17, v39, v14
	v_pack_b32_f16 v14, v18, v14
	ds_write2_b32 v20, v13, v14 offset0:78 offset1:91
	s_waitcnt lgkmcnt(1)
	v_lshrrev_b32_e32 v13, 16, v15
	s_waitcnt vmcnt(4)
	v_mul_f16_sdwa v14, v13, v40 dst_sel:DWORD dst_unused:UNUSED_PAD src0_sel:DWORD src1_sel:WORD_1
	v_fma_f16 v14, v15, v40, -v14
	v_mul_f16_sdwa v15, v15, v40 dst_sel:DWORD dst_unused:UNUSED_PAD src0_sel:DWORD src1_sel:WORD_1
	v_fma_f16 v13, v13, v40, v15
	v_lshrrev_b32_e32 v17, 16, v16
	v_pack_b32_f16 v15, v14, v13
	s_waitcnt vmcnt(3)
	v_mul_f16_sdwa v13, v17, v41 dst_sel:DWORD dst_unused:UNUSED_PAD src0_sel:DWORD src1_sel:WORD_1
	v_fma_f16 v18, v16, v41, -v13
	ds_read2_b32 v[13:14], v20 offset0:130 offset1:143
	v_mul_f16_sdwa v16, v16, v41 dst_sel:DWORD dst_unused:UNUSED_PAD src0_sel:DWORD src1_sel:WORD_1
	v_fma_f16 v16, v17, v41, v16
	v_pack_b32_f16 v16, v18, v16
	ds_write2_b32 v20, v15, v16 offset0:104 offset1:117
	s_waitcnt lgkmcnt(1)
	v_lshrrev_b32_e32 v15, 16, v13
	s_waitcnt vmcnt(2)
	v_mul_f16_sdwa v16, v15, v42 dst_sel:DWORD dst_unused:UNUSED_PAD src0_sel:DWORD src1_sel:WORD_1
	v_fma_f16 v16, v13, v42, -v16
	v_mul_f16_sdwa v13, v13, v42 dst_sel:DWORD dst_unused:UNUSED_PAD src0_sel:DWORD src1_sel:WORD_1
	v_fma_f16 v13, v15, v42, v13
	v_lshrrev_b32_e32 v15, 16, v14
	ds_read_b32 v17, v20 offset:624
	v_pack_b32_f16 v13, v16, v13
	s_waitcnt vmcnt(1)
	v_mul_f16_sdwa v16, v15, v43 dst_sel:DWORD dst_unused:UNUSED_PAD src0_sel:DWORD src1_sel:WORD_1
	v_fma_f16 v16, v14, v43, -v16
	v_mul_f16_sdwa v14, v14, v43 dst_sel:DWORD dst_unused:UNUSED_PAD src0_sel:DWORD src1_sel:WORD_1
	v_fma_f16 v14, v15, v43, v14
	v_pack_b32_f16 v14, v16, v14
	ds_write2_b32 v20, v13, v14 offset0:130 offset1:143
	s_waitcnt lgkmcnt(1)
	v_lshrrev_b32_e32 v13, 16, v17
	s_waitcnt vmcnt(0)
	v_mul_f16_sdwa v14, v13, v45 dst_sel:DWORD dst_unused:UNUSED_PAD src0_sel:DWORD src1_sel:WORD_1
	v_mul_f16_sdwa v15, v17, v45 dst_sel:DWORD dst_unused:UNUSED_PAD src0_sel:DWORD src1_sel:WORD_1
	v_fma_f16 v14, v17, v45, -v14
	v_fma_f16 v13, v13, v45, v15
	v_pack_b32_f16 v13, v14, v13
	ds_write_b32 v20, v13 offset:624
	s_waitcnt lgkmcnt(0)
	s_barrier
	ds_read2_b32 v[15:16], v20 offset1:13
	ds_read_b32 v35, v20 offset:624
	ds_read2_b32 v[17:18], v20 offset0:26 offset1:39
	ds_read2_b32 v[13:14], v20 offset0:130 offset1:143
	s_waitcnt lgkmcnt(2)
	v_pk_add_f16 v43, v16, v35 neg_lo:[0,1] neg_hi:[0,1]
	v_pk_add_f16 v42, v35, v16
	v_mul_f16_sdwa v44, v43, s1 dst_sel:DWORD dst_unused:UNUSED_PAD src0_sel:WORD_1 src1_sel:DWORD
	s_waitcnt lgkmcnt(0)
	v_pk_add_f16 v46, v17, v14 neg_lo:[0,1] neg_hi:[0,1]
	v_fma_f16 v36, v42, s15, v44
	v_pk_add_f16 v45, v14, v17
	v_mul_f16_sdwa v47, v46, s0 dst_sel:DWORD dst_unused:UNUSED_PAD src0_sel:WORD_1 src1_sel:DWORD
	v_add_f16_e32 v36, v36, v15
	v_fma_f16 v37, v45, s13, v47
	v_mul_f16_sdwa v48, v42, s15 dst_sel:DWORD dst_unused:UNUSED_PAD src0_sel:WORD_1 src1_sel:DWORD
	v_add_f16_e32 v36, v37, v36
	v_fma_f16 v37, v43, s18, v48
	v_mul_f16_sdwa v49, v45, s13 dst_sel:DWORD dst_unused:UNUSED_PAD src0_sel:WORD_1 src1_sel:DWORD
	v_add_f16_sdwa v37, v37, v15 dst_sel:DWORD dst_unused:UNUSED_PAD src0_sel:DWORD src1_sel:WORD_1
	v_fma_f16 v38, v46, s3, v49
	v_mul_f16_sdwa v50, v43, s0 dst_sel:DWORD dst_unused:UNUSED_PAD src0_sel:WORD_1 src1_sel:DWORD
	v_add_f16_e32 v37, v38, v37
	v_fma_f16 v38, v42, s13, v50
	v_mul_f16_sdwa v51, v46, s2 dst_sel:DWORD dst_unused:UNUSED_PAD src0_sel:WORD_1 src1_sel:DWORD
	v_add_f16_e32 v38, v38, v15
	;; [unrolled: 3-line block ×3, first 2 shown]
	v_fma_f16 v39, v43, s3, v52
	v_mul_f16_sdwa v53, v45, s14 dst_sel:DWORD dst_unused:UNUSED_PAD src0_sel:WORD_1 src1_sel:DWORD
	v_pk_add_f16 v55, v18, v13 neg_lo:[0,1] neg_hi:[0,1]
	v_add_f16_sdwa v39, v39, v15 dst_sel:DWORD dst_unused:UNUSED_PAD src0_sel:DWORD src1_sel:WORD_1
	v_fma_f16 v40, v46, s7, v53
	v_pk_add_f16 v54, v13, v18
	v_mul_f16_sdwa v56, v55, s6 dst_sel:DWORD dst_unused:UNUSED_PAD src0_sel:WORD_1 src1_sel:DWORD
	v_add_f16_e32 v40, v40, v39
	v_fma_f16 v39, v54, s12, v56
	v_mul_f16_sdwa v57, v54, s12 dst_sel:DWORD dst_unused:UNUSED_PAD src0_sel:WORD_1 src1_sel:DWORD
	v_add_f16_e32 v41, v39, v36
	v_fma_f16 v36, v55, s19, v57
	;; [unrolled: 3-line block ×3, first 2 shown]
	v_add_f16_e32 v60, v36, v38
	ds_read2_b32 v[36:37], v20 offset0:52 offset1:65
	ds_read2_b32 v[38:39], v20 offset0:104 offset1:117
	v_mul_f16_sdwa v61, v54, s17 dst_sel:DWORD dst_unused:UNUSED_PAD src0_sel:WORD_1 src1_sel:DWORD
	v_fma_f16 v62, v55, s21, v61
	v_add_f16_e32 v40, v62, v40
	v_mul_f16_sdwa v83, v45, s17 dst_sel:DWORD dst_unused:UNUSED_PAD src0_sel:WORD_1 src1_sel:DWORD
	s_waitcnt lgkmcnt(0)
	v_pk_add_f16 v63, v36, v39 neg_lo:[0,1] neg_hi:[0,1]
	v_pk_add_f16 v62, v39, v36
	v_mul_f16_sdwa v64, v63, s2 dst_sel:DWORD dst_unused:UNUSED_PAD src0_sel:WORD_1 src1_sel:DWORD
	v_fma_f16 v65, v62, s14, v64
	v_add_f16_e32 v41, v65, v41
	v_mul_f16_sdwa v65, v62, s14 dst_sel:DWORD dst_unused:UNUSED_PAD src0_sel:WORD_1 src1_sel:DWORD
	v_fma_f16 v66, v63, s7, v65
	v_add_f16_e32 v58, v66, v58
	;; [unrolled: 3-line block ×3, first 2 shown]
	v_mul_f16_sdwa v67, v62, s16 dst_sel:DWORD dst_unused:UNUSED_PAD src0_sel:WORD_1 src1_sel:DWORD
	v_pk_add_f16 v70, v37, v38 neg_lo:[0,1] neg_hi:[0,1]
	v_fma_f16 v68, v63, s23, v67
	v_pk_add_f16 v69, v38, v37
	v_mul_f16_sdwa v71, v70, s23 dst_sel:DWORD dst_unused:UNUSED_PAD src0_sel:WORD_1 src1_sel:DWORD
	v_add_f16_e32 v68, v68, v40
	v_fma_f16 v40, v69, s16, v71
	v_mul_f16_sdwa v73, v69, s16 dst_sel:DWORD dst_unused:UNUSED_PAD src0_sel:WORD_1 src1_sel:DWORD
	v_add_f16_e32 v72, v40, v41
	v_fma_f16 v40, v70, s22, v73
	v_add_f16_e32 v58, v40, v58
	ds_read2_b32 v[40:41], v20 offset0:78 offset1:91
	v_mul_f16_sdwa v74, v70, s19 dst_sel:DWORD dst_unused:UNUSED_PAD src0_sel:WORD_1 src1_sel:DWORD
	v_fma_f16 v75, v69, s12, v74
	v_add_f16_e32 v60, v75, v60
	v_mul_f16_sdwa v75, v69, s12 dst_sel:DWORD dst_unused:UNUSED_PAD src0_sel:WORD_1 src1_sel:DWORD
	v_fma_f16 v76, v70, s6, v75
	s_waitcnt lgkmcnt(0)
	v_pk_add_f16 v77, v40, v41 neg_lo:[0,1] neg_hi:[0,1]
	v_add_f16_e32 v68, v76, v68
	v_pk_add_f16 v76, v41, v40
	v_mul_f16_sdwa v78, v77, s20 dst_sel:DWORD dst_unused:UNUSED_PAD src0_sel:WORD_1 src1_sel:DWORD
	v_fma_f16 v79, v76, s17, v78
	v_add_f16_e32 v72, v79, v72
	v_mul_f16_sdwa v79, v76, s17 dst_sel:DWORD dst_unused:UNUSED_PAD src0_sel:WORD_1 src1_sel:DWORD
	v_fma_f16 v80, v77, s21, v79
	v_add_f16_e32 v58, v80, v58
	;; [unrolled: 3-line block ×4, first 2 shown]
	v_pack_b32_f16 v60, v60, v68
	v_pack_b32_f16 v58, v72, v58
	s_barrier
	ds_write2_b32 v34, v58, v60 offset0:1 offset1:2
	v_mul_f16_sdwa v58, v43, s6 dst_sel:DWORD dst_unused:UNUSED_PAD src0_sel:WORD_1 src1_sel:DWORD
	v_fma_f16 v60, v42, s12, v58
	v_mul_f16_sdwa v68, v46, s20 dst_sel:DWORD dst_unused:UNUSED_PAD src0_sel:WORD_1 src1_sel:DWORD
	v_add_f16_e32 v60, v60, v15
	v_fma_f16 v72, v45, s17, v68
	v_add_f16_e32 v60, v72, v60
	v_mul_f16_sdwa v72, v42, s12 dst_sel:DWORD dst_unused:UNUSED_PAD src0_sel:WORD_1 src1_sel:DWORD
	v_fma_f16 v82, v43, s19, v72
	v_add_f16_sdwa v82, v82, v15 dst_sel:DWORD dst_unused:UNUSED_PAD src0_sel:DWORD src1_sel:WORD_1
	v_fma_f16 v84, v46, s21, v83
	v_add_f16_e32 v82, v84, v82
	v_mul_f16_sdwa v84, v43, s2 dst_sel:DWORD dst_unused:UNUSED_PAD src0_sel:WORD_1 src1_sel:DWORD
	v_fma_f16 v85, v42, s14, v84
	v_mul_f16_sdwa v86, v46, s22 dst_sel:DWORD dst_unused:UNUSED_PAD src0_sel:WORD_1 src1_sel:DWORD
	v_add_f16_e32 v85, v85, v15
	v_fma_f16 v87, v45, s16, v86
	v_add_f16_e32 v85, v87, v85
	v_mul_f16_sdwa v87, v42, s14 dst_sel:DWORD dst_unused:UNUSED_PAD src0_sel:WORD_1 src1_sel:DWORD
	v_fma_f16 v88, v43, s7, v87
	v_mul_f16_sdwa v89, v45, s16 dst_sel:DWORD dst_unused:UNUSED_PAD src0_sel:WORD_1 src1_sel:DWORD
	v_add_f16_sdwa v88, v88, v15 dst_sel:DWORD dst_unused:UNUSED_PAD src0_sel:DWORD src1_sel:WORD_1
	v_fma_f16 v90, v46, s23, v89
	v_add_f16_e32 v88, v90, v88
	v_mul_f16_sdwa v90, v55, s7 dst_sel:DWORD dst_unused:UNUSED_PAD src0_sel:WORD_1 src1_sel:DWORD
	v_fma_f16 v91, v54, s14, v90
	v_add_f16_e32 v60, v91, v60
	v_mul_f16_sdwa v91, v54, s14 dst_sel:DWORD dst_unused:UNUSED_PAD src0_sel:WORD_1 src1_sel:DWORD
	;; [unrolled: 3-line block ×16, first 2 shown]
	v_fma_f16 v106, v77, s0, v105
	v_add_f16_e32 v88, v106, v88
	v_pack_b32_f16 v85, v85, v88
	v_pack_b32_f16 v60, v60, v82
	ds_write2_b32 v34, v60, v85 offset0:3 offset1:4
	v_fma_f16 v60, v43, s6, v72
	v_fma_f16 v72, v42, s14, -v84
	v_mul_f16_sdwa v84, v43, s23 dst_sel:DWORD dst_unused:UNUSED_PAD src0_sel:WORD_1 src1_sel:DWORD
	v_fma_f16 v44, v42, s15, -v44
	v_fma_f16 v50, v42, s13, -v50
	;; [unrolled: 1-line block ×3, first 2 shown]
	v_fma_f16 v82, v43, s2, v87
	v_fma_f16 v85, v42, s16, v84
	v_fma_f16 v84, v42, s16, -v84
	v_mul_f16_sdwa v87, v42, s16 dst_sel:DWORD dst_unused:UNUSED_PAD src0_sel:WORD_1 src1_sel:DWORD
	v_pk_mul_f16 v42, v42, s17 op_sel_hi:[1,0]
	v_fma_f16 v48, v43, s1, v48
	v_fma_f16 v52, v43, s0, v52
	;; [unrolled: 1-line block ×4, first 2 shown]
	v_pk_fma_f16 v106, v43, s20, v42 op_sel:[0,0,1] op_sel_hi:[1,0,0]
	v_pk_fma_f16 v42, v43, s20, v42 op_sel:[0,0,1] op_sel_hi:[1,0,0] neg_lo:[1,0,0] neg_hi:[1,0,0]
	v_alignbit_b32 v43, s0, v16, 16
	v_pk_add_f16 v43, v43, v15 op_sel:[0,1] op_sel_hi:[1,0]
	v_add_f16_e32 v44, v44, v15
	v_add_f16_sdwa v48, v48, v15 dst_sel:DWORD dst_unused:UNUSED_PAD src0_sel:DWORD src1_sel:WORD_1
	v_add_f16_e32 v50, v50, v15
	v_add_f16_sdwa v52, v52, v15 dst_sel:DWORD dst_unused:UNUSED_PAD src0_sel:DWORD src1_sel:WORD_1
	;; [unrolled: 2-line block ×6, first 2 shown]
	v_pk_add_f16 v106, v106, v15 op_sel:[0,1] op_sel_hi:[1,0]
	v_pk_add_f16 v42, v42, v15 op_sel:[0,1] op_sel_hi:[1,0]
	v_pk_add_f16 v15, v16, v15 op_sel_hi:[1,0]
	v_alignbit_b32 v16, s0, v17, 16
	v_pk_add_f16 v15, v15, v17
	v_pk_add_f16 v16, v43, v16
	v_pk_add_f16 v15, v15, v18
	v_alignbit_b32 v17, s0, v18, 16
	v_pk_add_f16 v16, v16, v17
	v_alignbit_b32 v17, s0, v36, 16
	v_pk_add_f16 v15, v15, v36
	v_pk_add_f16 v16, v16, v17
	v_pk_add_f16 v15, v15, v37
	v_alignbit_b32 v17, s0, v37, 16
	v_pk_add_f16 v16, v16, v17
	;; [unrolled: 6-line block ×5, first 2 shown]
	v_alignbit_b32 v15, s0, v35, 16
	v_pk_add_f16 v13, v13, v35
	v_pk_add_f16 v14, v14, v15
	v_perm_b32 v13, v13, v14, s24
	v_fma_f16 v14, v45, s13, -v47
	v_pk_mul_f16 v43, v45, s15 op_sel_hi:[1,0]
	v_add_f16_e32 v14, v14, v44
	v_pk_fma_f16 v44, v46, s18, v43 op_sel:[0,0,1] op_sel_hi:[1,0,0]
	v_pk_fma_f16 v43, v46, s18, v43 op_sel:[0,0,1] op_sel_hi:[1,0,0] neg_lo:[1,0,0] neg_hi:[1,0,0]
	v_fma_f16 v15, v46, s0, v49
	v_pk_add_f16 v42, v43, v42
	v_fma_f16 v43, v54, s12, -v56
	v_add_f16_e32 v15, v15, v48
	v_fma_f16 v16, v45, s14, -v51
	v_add_f16_e32 v14, v43, v14
	v_fma_f16 v43, v55, s6, v57
	v_add_f16_e32 v16, v16, v50
	v_fma_f16 v17, v46, s2, v53
	v_add_f16_e32 v15, v43, v15
	v_fma_f16 v43, v54, s17, -v59
	v_add_f16_e32 v17, v17, v52
	v_fma_f16 v18, v45, s17, -v68
	v_add_f16_e32 v16, v43, v16
	v_fma_f16 v43, v55, s20, v61
	v_add_f16_e32 v18, v18, v58
	v_fma_f16 v35, v46, s20, v83
	v_add_f16_e32 v17, v43, v17
	;; [unrolled: 8-line block ×3, first 2 shown]
	v_fma_f16 v43, v54, s15, -v92
	v_add_f16_e32 v37, v37, v82
	v_mul_f16_sdwa v38, v46, s19 dst_sel:DWORD dst_unused:UNUSED_PAD src0_sel:WORD_1 src1_sel:DWORD
	v_add_f16_e32 v36, v43, v36
	v_fma_f16 v43, v55, s18, v93
	v_fma_f16 v39, v45, s12, v38
	v_add_f16_e32 v37, v43, v37
	v_mul_f16_sdwa v43, v55, s0 dst_sel:DWORD dst_unused:UNUSED_PAD src0_sel:WORD_1 src1_sel:DWORD
	v_add_f16_e32 v39, v39, v85
	v_mul_f16_sdwa v40, v45, s12 dst_sel:DWORD dst_unused:UNUSED_PAD src0_sel:WORD_1 src1_sel:DWORD
	v_fma_f16 v38, v45, s12, -v38
	v_fma_f16 v45, v54, s13, v43
	v_fma_f16 v41, v46, s6, v40
	v_add_f16_e32 v38, v38, v84
	v_fma_f16 v40, v46, s19, v40
	v_add_f16_e32 v39, v45, v39
	v_mul_f16_sdwa v45, v54, s13 dst_sel:DWORD dst_unused:UNUSED_PAD src0_sel:WORD_1 src1_sel:DWORD
	v_fma_f16 v43, v54, s13, -v43
	v_add_f16_e32 v40, v40, v87
	v_add_f16_e32 v38, v43, v38
	v_fma_f16 v43, v55, s0, v45
	v_add_f16_e32 v40, v43, v40
	v_pk_mul_f16 v43, v54, s16 op_sel_hi:[1,0]
	v_fma_f16 v46, v55, s3, v45
	v_pk_fma_f16 v45, v55, s23, v43 op_sel:[0,0,1] op_sel_hi:[1,0,0]
	v_pk_fma_f16 v43, v55, s23, v43 op_sel:[0,0,1] op_sel_hi:[1,0,0] neg_lo:[1,0,0] neg_hi:[1,0,0]
	v_pk_add_f16 v42, v43, v42
	v_fma_f16 v43, v62, s14, -v64
	v_add_f16_e32 v14, v43, v14
	v_fma_f16 v43, v63, s2, v65
	v_add_f16_e32 v15, v43, v15
	v_fma_f16 v43, v62, s16, -v66
	v_add_f16_e32 v16, v43, v16
	v_fma_f16 v43, v63, s22, v67
	v_add_f16_e32 v17, v43, v17
	;; [unrolled: 4-line block ×3, first 2 shown]
	v_fma_f16 v43, v62, s12, -v96
	v_add_f16_e32 v36, v43, v36
	v_fma_f16 v43, v63, s6, v97
	v_pk_add_f16 v44, v44, v106
	v_add_f16_e32 v37, v43, v37
	v_mul_f16_sdwa v43, v63, s21 dst_sel:DWORD dst_unused:UNUSED_PAD src0_sel:WORD_1 src1_sel:DWORD
	v_pk_add_f16 v44, v45, v44
	v_fma_f16 v45, v62, s17, v43
	v_add_f16_e32 v39, v45, v39
	v_mul_f16_sdwa v45, v62, s17 dst_sel:DWORD dst_unused:UNUSED_PAD src0_sel:WORD_1 src1_sel:DWORD
	v_fma_f16 v43, v62, s17, -v43
	v_add_f16_e32 v38, v43, v38
	v_fma_f16 v43, v63, s21, v45
	v_add_f16_e32 v41, v41, v88
	v_add_f16_e32 v40, v43, v40
	v_pk_mul_f16 v43, v62, s13 op_sel_hi:[1,0]
	v_add_f16_e32 v41, v46, v41
	v_fma_f16 v46, v63, s20, v45
	v_pk_fma_f16 v45, v63, s3, v43 op_sel:[0,0,1] op_sel_hi:[1,0,0]
	v_pk_fma_f16 v43, v63, s3, v43 op_sel:[0,0,1] op_sel_hi:[1,0,0] neg_lo:[1,0,0] neg_hi:[1,0,0]
	v_pk_add_f16 v42, v43, v42
	v_fma_f16 v43, v69, s16, -v71
	v_add_f16_e32 v14, v43, v14
	v_fma_f16 v43, v70, s23, v73
	v_add_f16_e32 v15, v43, v15
	v_fma_f16 v43, v69, s12, -v74
	v_add_f16_e32 v16, v43, v16
	v_fma_f16 v43, v70, s19, v75
	v_add_f16_e32 v17, v43, v17
	;; [unrolled: 4-line block ×4, first 2 shown]
	v_mul_f16_sdwa v43, v70, s18 dst_sel:DWORD dst_unused:UNUSED_PAD src0_sel:WORD_1 src1_sel:DWORD
	v_pk_add_f16 v44, v45, v44
	v_fma_f16 v45, v69, s15, v43
	v_add_f16_e32 v39, v45, v39
	v_mul_f16_sdwa v45, v69, s15 dst_sel:DWORD dst_unused:UNUSED_PAD src0_sel:WORD_1 src1_sel:DWORD
	v_fma_f16 v43, v69, s15, -v43
	v_add_f16_e32 v38, v43, v38
	v_fma_f16 v43, v70, s18, v45
	v_add_f16_e32 v40, v43, v40
	v_pk_mul_f16 v43, v69, s14 op_sel_hi:[1,0]
	v_add_f16_e32 v41, v46, v41
	v_fma_f16 v46, v70, s1, v45
	v_pk_fma_f16 v45, v70, s2, v43 op_sel:[0,0,1] op_sel_hi:[1,0,0]
	v_pk_fma_f16 v43, v70, s2, v43 op_sel:[0,0,1] op_sel_hi:[1,0,0] neg_lo:[1,0,0] neg_hi:[1,0,0]
	v_pk_add_f16 v42, v43, v42
	v_fma_f16 v43, v76, s17, -v78
	v_add_f16_e32 v14, v43, v14
	v_fma_f16 v43, v77, s20, v79
	v_add_f16_e32 v15, v43, v15
	v_fma_f16 v43, v76, s15, -v80
	v_add_f16_e32 v16, v43, v16
	v_fma_f16 v43, v77, s18, v81
	v_add_f16_e32 v17, v43, v17
	;; [unrolled: 4-line block ×4, first 2 shown]
	v_mul_f16_sdwa v43, v77, s2 dst_sel:DWORD dst_unused:UNUSED_PAD src0_sel:WORD_1 src1_sel:DWORD
	v_pk_add_f16 v44, v45, v44
	v_fma_f16 v45, v76, s14, v43
	v_add_f16_e32 v39, v45, v39
	v_mul_f16_sdwa v45, v76, s14 dst_sel:DWORD dst_unused:UNUSED_PAD src0_sel:WORD_1 src1_sel:DWORD
	v_fma_f16 v43, v76, s14, -v43
	v_add_f16_e32 v38, v43, v38
	v_fma_f16 v43, v77, s2, v45
	v_add_f16_e32 v41, v46, v41
	v_fma_f16 v46, v77, s7, v45
	v_add_f16_e32 v40, v43, v40
	v_pk_mul_f16 v43, v76, s12 op_sel_hi:[1,0]
	v_add_f16_e32 v41, v46, v41
	v_pk_fma_f16 v45, v77, s19, v43 op_sel:[0,0,1] op_sel_hi:[1,0,0]
	v_pk_fma_f16 v43, v77, s19, v43 op_sel:[0,0,1] op_sel_hi:[1,0,0] neg_lo:[1,0,0] neg_hi:[1,0,0]
	v_pk_add_f16 v44, v45, v44
	v_pk_add_f16 v42, v43, v42
	v_pack_b32_f16 v39, v39, v41
	ds_write2_b32 v34, v13, v39 offset1:5
	v_alignbit_b32 v13, v44, v42, 16
	v_alignbit_b32 v39, v42, v44, 16
	ds_write2_b32 v34, v39, v13 offset0:6 offset1:7
	v_pack_b32_f16 v13, v36, v37
	v_pack_b32_f16 v36, v38, v40
	ds_write2_b32 v34, v36, v13 offset0:8 offset1:9
	v_pack_b32_f16 v13, v16, v17
	v_pack_b32_f16 v16, v18, v35
	ds_write2_b32 v34, v16, v13 offset0:10 offset1:11
	v_pack_b32_f16 v13, v14, v15
	ds_write_b32 v34, v13 offset:48
	s_waitcnt lgkmcnt(0)
	s_barrier
	ds_read2_b32 v[13:14], v20 offset0:52 offset1:65
	ds_read2_b32 v[15:16], v20 offset0:78 offset1:91
	;; [unrolled: 1-line block ×4, first 2 shown]
	s_waitcnt lgkmcnt(3)
	v_lshrrev_b32_e32 v36, 16, v14
	s_waitcnt lgkmcnt(2)
	v_lshrrev_b32_e32 v37, 16, v15
	v_mul_f16_sdwa v41, v9, v37 dst_sel:DWORD dst_unused:UNUSED_PAD src0_sel:WORD_1 src1_sel:DWORD
	v_lshrrev_b32_e32 v38, 16, v16
	v_fma_f16 v41, v9, v15, v41
	v_mul_f16_sdwa v15, v9, v15 dst_sel:DWORD dst_unused:UNUSED_PAD src0_sel:WORD_1 src1_sel:DWORD
	v_fma_f16 v9, v9, v37, -v15
	v_mul_f16_sdwa v15, v10, v38 dst_sel:DWORD dst_unused:UNUSED_PAD src0_sel:WORD_1 src1_sel:DWORD
	v_mul_f16_sdwa v37, v8, v14 dst_sel:DWORD dst_unused:UNUSED_PAD src0_sel:WORD_1 src1_sel:DWORD
	s_waitcnt lgkmcnt(1)
	v_lshrrev_b32_e32 v39, 16, v17
	v_lshrrev_b32_e32 v40, 16, v18
	v_fma_f16 v15, v10, v16, v15
	v_mul_f16_sdwa v16, v10, v16 dst_sel:DWORD dst_unused:UNUSED_PAD src0_sel:WORD_1 src1_sel:DWORD
	v_fma_f16 v37, v8, v36, -v37
	v_mul_f16_sdwa v36, v8, v36 dst_sel:DWORD dst_unused:UNUSED_PAD src0_sel:WORD_1 src1_sel:DWORD
	v_fma_f16 v8, v8, v14, v36
	v_fma_f16 v10, v10, v38, -v16
	v_mul_f16_sdwa v14, v11, v17 dst_sel:DWORD dst_unused:UNUSED_PAD src0_sel:WORD_1 src1_sel:DWORD
	v_mul_f16_sdwa v16, v11, v39 dst_sel:DWORD dst_unused:UNUSED_PAD src0_sel:WORD_1 src1_sel:DWORD
	;; [unrolled: 1-line block ×3, first 2 shown]
	v_fma_f16 v14, v11, v39, -v14
	v_fma_f16 v11, v11, v17, v16
	s_waitcnt lgkmcnt(0)
	v_lshrrev_b32_e32 v16, 16, v34
	v_fma_f16 v38, v4, v18, v38
	v_mul_f16_sdwa v18, v4, v18 dst_sel:DWORD dst_unused:UNUSED_PAD src0_sel:WORD_1 src1_sel:DWORD
	v_fma_f16 v18, v4, v40, -v18
	v_mul_f16_sdwa v4, v5, v16 dst_sel:DWORD dst_unused:UNUSED_PAD src0_sel:WORD_1 src1_sel:DWORD
	v_lshrrev_b32_e32 v17, 16, v35
	ds_read_b32 v36, v20 offset:624
	v_fma_f16 v39, v5, v34, v4
	v_mul_f16_sdwa v4, v5, v34 dst_sel:DWORD dst_unused:UNUSED_PAD src0_sel:WORD_1 src1_sel:DWORD
	v_fma_f16 v16, v5, v16, -v4
	v_mul_f16_sdwa v4, v6, v17 dst_sel:DWORD dst_unused:UNUSED_PAD src0_sel:WORD_1 src1_sel:DWORD
	v_fma_f16 v34, v6, v35, v4
	v_mul_f16_sdwa v4, v6, v35 dst_sel:DWORD dst_unused:UNUSED_PAD src0_sel:WORD_1 src1_sel:DWORD
	v_fma_f16 v6, v6, v17, -v4
	ds_read2_b32 v[4:5], v20 offset0:26 offset1:39
	s_waitcnt lgkmcnt(1)
	v_lshrrev_b32_e32 v35, 16, v36
	v_mul_f16_sdwa v17, v7, v35 dst_sel:DWORD dst_unused:UNUSED_PAD src0_sel:WORD_1 src1_sel:DWORD
	v_fma_f16 v17, v7, v36, v17
	v_mul_f16_sdwa v36, v7, v36 dst_sel:DWORD dst_unused:UNUSED_PAD src0_sel:WORD_1 src1_sel:DWORD
	v_fma_f16 v7, v7, v35, -v36
	s_waitcnt lgkmcnt(0)
	v_lshrrev_b32_e32 v35, 16, v4
	v_mul_f16_sdwa v40, v1, v4 dst_sel:DWORD dst_unused:UNUSED_PAD src0_sel:WORD_1 src1_sel:DWORD
	v_lshrrev_b32_e32 v36, 16, v5
	v_fma_f16 v40, v1, v35, -v40
	v_mul_f16_sdwa v35, v1, v35 dst_sel:DWORD dst_unused:UNUSED_PAD src0_sel:WORD_1 src1_sel:DWORD
	v_fma_f16 v4, v1, v4, v35
	v_mul_f16_sdwa v1, v2, v36 dst_sel:DWORD dst_unused:UNUSED_PAD src0_sel:WORD_1 src1_sel:DWORD
	v_fma_f16 v35, v2, v5, v1
	v_mul_f16_sdwa v1, v2, v5 dst_sel:DWORD dst_unused:UNUSED_PAD src0_sel:WORD_1 src1_sel:DWORD
	v_fma_f16 v5, v2, v36, -v1
	ds_read2_b32 v[1:2], v20 offset1:13
	v_lshrrev_b32_e32 v36, 16, v13
	v_mul_f16_sdwa v42, v3, v36 dst_sel:DWORD dst_unused:UNUSED_PAD src0_sel:WORD_1 src1_sel:DWORD
	v_fma_f16 v42, v3, v13, v42
	v_mul_f16_sdwa v13, v3, v13 dst_sel:DWORD dst_unused:UNUSED_PAD src0_sel:WORD_1 src1_sel:DWORD
	v_fma_f16 v3, v3, v36, -v13
	s_waitcnt lgkmcnt(0)
	v_lshrrev_b32_e32 v13, 16, v2
	v_mul_f16_sdwa v36, v0, v2 dst_sel:DWORD dst_unused:UNUSED_PAD src0_sel:WORD_1 src1_sel:DWORD
	v_fma_f16 v36, v0, v13, -v36
	v_mul_f16_sdwa v13, v0, v13 dst_sel:DWORD dst_unused:UNUSED_PAD src0_sel:WORD_1 src1_sel:DWORD
	v_fma_f16 v0, v0, v2, v13
	v_sub_f16_e32 v13, v36, v7
	v_add_f16_e32 v2, v0, v17
	v_mul_f16_e32 v43, 0xb770, v13
	v_mul_f16_e32 v45, 0xba95, v13
	;; [unrolled: 1-line block ×6, first 2 shown]
	v_fma_f16 v44, v2, s15, v43
	v_fma_f16 v43, v2, s15, -v43
	v_fma_f16 v46, v2, s13, v45
	v_fma_f16 v45, v2, s13, -v45
	;; [unrolled: 2-line block ×6, first 2 shown]
	v_add_f16_e32 v13, v36, v7
	v_sub_f16_e32 v54, v0, v17
	v_mul_f16_e32 v55, 0x3b15, v13
	v_mul_f16_e32 v57, 0x388b, v13
	;; [unrolled: 1-line block ×6, first 2 shown]
	v_fma_f16 v56, v54, s18, v55
	v_fma_f16 v55, v54, s1, v55
	;; [unrolled: 1-line block ×12, first 2 shown]
	v_add_f16_e32 v0, v0, v1
	v_add_f16_sdwa v36, v36, v1 dst_sel:DWORD dst_unused:UNUSED_PAD src0_sel:DWORD src1_sel:WORD_1
	v_add_f16_e32 v44, v44, v1
	v_add_f16_sdwa v54, v56, v1 dst_sel:DWORD dst_unused:UNUSED_PAD src0_sel:DWORD src1_sel:WORD_1
	v_add_f16_e32 v43, v43, v1
	v_add_f16_sdwa v55, v55, v1 dst_sel:DWORD dst_unused:UNUSED_PAD src0_sel:DWORD src1_sel:WORD_1
	v_add_f16_e32 v46, v46, v1
	v_add_f16_sdwa v56, v58, v1 dst_sel:DWORD dst_unused:UNUSED_PAD src0_sel:DWORD src1_sel:WORD_1
	v_add_f16_e32 v45, v45, v1
	v_add_f16_sdwa v57, v57, v1 dst_sel:DWORD dst_unused:UNUSED_PAD src0_sel:DWORD src1_sel:WORD_1
	v_add_f16_e32 v48, v48, v1
	v_add_f16_sdwa v58, v60, v1 dst_sel:DWORD dst_unused:UNUSED_PAD src0_sel:DWORD src1_sel:WORD_1
	v_add_f16_e32 v47, v47, v1
	v_add_f16_sdwa v59, v59, v1 dst_sel:DWORD dst_unused:UNUSED_PAD src0_sel:DWORD src1_sel:WORD_1
	v_add_f16_e32 v50, v50, v1
	v_add_f16_sdwa v60, v62, v1 dst_sel:DWORD dst_unused:UNUSED_PAD src0_sel:DWORD src1_sel:WORD_1
	v_add_f16_e32 v49, v49, v1
	v_add_f16_sdwa v61, v61, v1 dst_sel:DWORD dst_unused:UNUSED_PAD src0_sel:DWORD src1_sel:WORD_1
	v_add_f16_e32 v52, v52, v1
	v_add_f16_sdwa v62, v64, v1 dst_sel:DWORD dst_unused:UNUSED_PAD src0_sel:DWORD src1_sel:WORD_1
	v_add_f16_e32 v51, v51, v1
	v_add_f16_sdwa v63, v63, v1 dst_sel:DWORD dst_unused:UNUSED_PAD src0_sel:DWORD src1_sel:WORD_1
	v_add_f16_e32 v53, v53, v1
	v_add_f16_sdwa v64, v65, v1 dst_sel:DWORD dst_unused:UNUSED_PAD src0_sel:DWORD src1_sel:WORD_1
	v_add_f16_e32 v2, v2, v1
	v_add_f16_sdwa v1, v13, v1 dst_sel:DWORD dst_unused:UNUSED_PAD src0_sel:DWORD src1_sel:WORD_1
	v_add_f16_e32 v0, v0, v4
	v_add_f16_e32 v13, v36, v40
	;; [unrolled: 1-line block ×21, first 2 shown]
	v_add_f16_sdwa v7, v13, v7 dst_sel:WORD_1 dst_unused:UNUSED_PAD src0_sel:DWORD src1_sel:DWORD
	v_add_f16_e32 v13, v40, v6
	v_sub_f16_e32 v6, v40, v6
	v_or_b32_e32 v0, v7, v0
	v_add_f16_e32 v7, v4, v34
	v_mul_f16_e32 v17, 0xba95, v6
	v_sub_f16_e32 v4, v4, v34
	v_fma_f16 v34, v7, s13, v17
	v_fma_f16 v17, v7, s13, -v17
	v_add_f16_e32 v17, v17, v43
	v_mul_f16_e32 v43, 0xbb7b, v6
	v_add_f16_e32 v34, v34, v44
	v_mul_f16_e32 v36, 0x388b, v13
	v_fma_f16 v44, v7, s14, v43
	v_fma_f16 v40, v4, s3, v36
	v_add_f16_e32 v44, v44, v46
	v_mul_f16_e32 v46, 0xb5ac, v13
	v_fma_f16 v43, v7, s14, -v43
	v_add_f16_e32 v40, v40, v54
	v_fma_f16 v36, v4, s0, v36
	v_fma_f16 v54, v4, s7, v46
	v_add_f16_e32 v43, v43, v45
	v_fma_f16 v45, v4, s2, v46
	v_mul_f16_e32 v46, 0xb3a8, v6
	v_add_f16_e32 v36, v36, v55
	v_fma_f16 v55, v7, s17, v46
	v_add_f16_e32 v48, v55, v48
	v_mul_f16_e32 v55, 0xbbc4, v13
	v_fma_f16 v46, v7, s17, -v46
	v_add_f16_e32 v54, v54, v56
	v_fma_f16 v56, v4, s21, v55
	v_add_f16_e32 v46, v46, v47
	v_fma_f16 v47, v4, s20, v55
	v_mul_f16_e32 v55, 0x394e, v6
	v_add_f16_e32 v45, v45, v57
	v_fma_f16 v57, v7, s16, v55
	v_add_f16_e32 v50, v57, v50
	v_mul_f16_e32 v57, 0xb9fd, v13
	v_fma_f16 v55, v7, s16, -v55
	v_add_f16_e32 v56, v56, v58
	v_fma_f16 v58, v4, s23, v57
	v_add_f16_e32 v49, v55, v49
	v_fma_f16 v55, v4, s22, v57
	v_mul_f16_e32 v57, 0x3bf1, v6
	v_add_f16_e32 v47, v47, v59
	v_fma_f16 v59, v7, s12, v57
	v_add_f16_e32 v52, v59, v52
	v_mul_f16_e32 v59, 0x2fb7, v13
	v_fma_f16 v57, v7, s12, -v57
	v_mul_f16_e32 v6, 0x3770, v6
	v_add_f16_e32 v58, v58, v60
	v_fma_f16 v60, v4, s6, v59
	v_add_f16_e32 v51, v57, v51
	v_fma_f16 v57, v4, s19, v59
	v_fma_f16 v59, v7, s15, v6
	v_mul_f16_e32 v13, 0x3b15, v13
	v_add_f16_e32 v53, v59, v53
	v_fma_f16 v59, v4, s1, v13
	v_fma_f16 v6, v7, s15, -v6
	v_fma_f16 v4, v4, s18, v13
	v_add_f16_e32 v7, v5, v16
	v_sub_f16_e32 v5, v5, v16
	v_add_f16_e32 v1, v4, v1
	v_add_f16_e32 v4, v35, v39
	v_mul_f16_e32 v13, 0xbbf1, v5
	v_fma_f16 v16, v4, s12, v13
	v_add_f16_e32 v2, v6, v2
	v_sub_f16_e32 v6, v35, v39
	v_add_f16_e32 v16, v16, v34
	v_mul_f16_e32 v34, 0x2fb7, v7
	v_fma_f16 v13, v4, s12, -v13
	v_fma_f16 v35, v6, s19, v34
	v_add_f16_e32 v13, v13, v17
	v_fma_f16 v17, v6, s6, v34
	v_mul_f16_e32 v34, 0xb3a8, v5
	v_add_f16_e32 v17, v17, v36
	v_fma_f16 v36, v4, s17, v34
	v_mul_f16_e32 v39, 0xbbc4, v7
	v_fma_f16 v34, v4, s17, -v34
	v_add_f16_e32 v35, v35, v40
	v_fma_f16 v40, v6, s21, v39
	v_add_f16_e32 v34, v34, v43
	v_fma_f16 v39, v6, s20, v39
	v_mul_f16_e32 v43, 0x3b7b, v5
	v_add_f16_e32 v36, v36, v44
	v_add_f16_e32 v39, v39, v45
	v_fma_f16 v44, v4, s14, v43
	v_mul_f16_e32 v45, 0xb5ac, v7
	v_fma_f16 v43, v4, s14, -v43
	v_add_f16_e32 v44, v44, v48
	v_fma_f16 v48, v6, s2, v45
	v_add_f16_e32 v43, v43, v46
	v_fma_f16 v45, v6, s7, v45
	v_mul_f16_e32 v46, 0x3770, v5
	v_add_f16_e32 v45, v45, v47
	v_fma_f16 v47, v4, s15, v46
	v_add_f16_e32 v47, v47, v50
	v_mul_f16_e32 v50, 0x3b15, v7
	v_fma_f16 v46, v4, s15, -v46
	v_add_f16_e32 v55, v55, v61
	v_add_f16_e32 v40, v40, v54
	v_fma_f16 v54, v6, s1, v50
	v_add_f16_e32 v46, v46, v49
	v_fma_f16 v49, v6, s18, v50
	v_mul_f16_e32 v50, 0xba95, v5
	v_add_f16_e32 v49, v49, v55
	v_fma_f16 v55, v4, s13, v50
	v_add_f16_e32 v52, v55, v52
	v_mul_f16_e32 v55, 0x388b, v7
	v_fma_f16 v50, v4, s13, -v50
	v_mul_f16_e32 v5, 0xb94e, v5
	v_add_f16_e32 v48, v48, v56
	v_fma_f16 v56, v6, s3, v55
	v_add_f16_e32 v50, v50, v51
	v_fma_f16 v51, v6, s0, v55
	v_fma_f16 v55, v4, s16, v5
	v_mul_f16_e32 v7, 0xb9fd, v7
	v_fma_f16 v4, v4, s16, -v5
	v_add_f16_e32 v53, v55, v53
	v_fma_f16 v55, v6, s22, v7
	v_add_f16_e32 v2, v4, v2
	v_fma_f16 v4, v6, s23, v7
	v_add_f16_e32 v6, v3, v18
	v_sub_f16_e32 v3, v3, v18
	v_add_f16_e32 v1, v4, v1
	v_add_f16_e32 v4, v42, v38
	v_mul_f16_e32 v7, 0xbb7b, v3
	v_fma_f16 v18, v4, s14, v7
	v_sub_f16_e32 v5, v42, v38
	v_add_f16_e32 v16, v18, v16
	v_mul_f16_e32 v18, 0xb5ac, v6
	v_fma_f16 v7, v4, s14, -v7
	v_add_f16_e32 v7, v7, v13
	v_fma_f16 v13, v5, s2, v18
	v_add_f16_e32 v13, v13, v17
	v_mul_f16_e32 v17, 0x394e, v3
	v_fma_f16 v38, v5, s7, v18
	v_fma_f16 v18, v4, s16, v17
	v_add_f16_e32 v18, v18, v36
	v_mul_f16_e32 v36, 0xb9fd, v6
	v_fma_f16 v17, v4, s16, -v17
	v_add_f16_e32 v35, v38, v35
	v_fma_f16 v38, v5, s23, v36
	v_add_f16_e32 v17, v17, v34
	v_fma_f16 v34, v5, s22, v36
	v_mul_f16_e32 v36, 0x3770, v3
	v_add_f16_e32 v38, v38, v40
	v_add_f16_e32 v34, v34, v39
	v_fma_f16 v39, v4, s15, v36
	v_mul_f16_e32 v40, 0x3b15, v6
	v_fma_f16 v36, v4, s15, -v36
	v_fma_f16 v42, v5, s1, v40
	v_add_f16_e32 v36, v36, v43
	v_fma_f16 v40, v5, s18, v40
	v_mul_f16_e32 v43, 0xbbf1, v3
	v_add_f16_e32 v39, v39, v44
	v_add_f16_e32 v40, v40, v45
	v_fma_f16 v44, v4, s12, v43
	v_mul_f16_e32 v45, 0x2fb7, v6
	v_fma_f16 v43, v4, s12, -v43
	v_add_f16_e32 v44, v44, v47
	v_fma_f16 v47, v5, s19, v45
	v_add_f16_e32 v43, v43, v46
	v_fma_f16 v45, v5, s6, v45
	v_mul_f16_e32 v46, 0x33a8, v3
	v_add_f16_e32 v57, v57, v63
	v_add_f16_e32 v42, v42, v48
	;; [unrolled: 1-line block ×3, first 2 shown]
	v_fma_f16 v48, v4, s17, v46
	v_mul_f16_e32 v49, 0xbbc4, v6
	v_fma_f16 v46, v4, s17, -v46
	v_mul_f16_e32 v3, 0x3a95, v3
	v_add_f16_e32 v51, v51, v57
	v_add_f16_e32 v48, v48, v52
	v_fma_f16 v52, v5, s20, v49
	v_add_f16_e32 v46, v46, v50
	v_fma_f16 v49, v5, s21, v49
	v_fma_f16 v50, v4, s13, v3
	v_mul_f16_e32 v6, 0x388b, v6
	v_fma_f16 v3, v4, s13, -v3
	v_add_f16_e32 v49, v49, v51
	v_fma_f16 v51, v5, s0, v6
	v_add_f16_e32 v2, v3, v2
	v_fma_f16 v3, v5, s3, v6
	v_sub_f16_e32 v6, v37, v14
	v_add_f16_e32 v1, v3, v1
	v_add_f16_e32 v3, v8, v11
	v_sub_f16_e32 v4, v8, v11
	v_add_f16_e32 v5, v37, v14
	v_mul_f16_e32 v8, 0xb94e, v6
	v_fma_f16 v11, v3, s16, v8
	v_mul_f16_e32 v14, 0xb9fd, v5
	v_fma_f16 v8, v3, s16, -v8
	v_add_f16_e32 v7, v8, v7
	v_fma_f16 v8, v4, s23, v14
	v_add_f16_e32 v8, v8, v13
	v_mul_f16_e32 v13, 0x3bf1, v6
	v_add_f16_e32 v11, v11, v16
	v_fma_f16 v16, v4, s22, v14
	v_fma_f16 v14, v3, s12, v13
	v_add_f16_e32 v14, v14, v18
	v_mul_f16_e32 v18, 0x2fb7, v5
	v_fma_f16 v13, v3, s12, -v13
	v_add_f16_e32 v16, v16, v35
	v_fma_f16 v35, v4, s6, v18
	v_add_f16_e32 v13, v13, v17
	v_fma_f16 v17, v4, s19, v18
	v_mul_f16_e32 v18, 0xba95, v6
	v_add_f16_e32 v17, v17, v34
	v_fma_f16 v34, v3, s13, v18
	v_mul_f16_e32 v37, 0x388b, v5
	v_fma_f16 v18, v3, s13, -v18
	v_add_f16_e32 v35, v35, v38
	v_fma_f16 v38, v4, s3, v37
	v_add_f16_e32 v18, v18, v36
	v_fma_f16 v36, v4, s0, v37
	v_mul_f16_e32 v37, 0x33a8, v6
	v_add_f16_e32 v34, v34, v39
	v_fma_f16 v39, v3, s17, v37
	v_fma_f16 v37, v3, s17, -v37
	v_add_f16_e32 v36, v36, v40
	v_mul_f16_e32 v40, 0xbbc4, v5
	v_add_f16_e32 v37, v37, v43
	v_mul_f16_e32 v43, 0x3770, v6
	v_add_f16_e32 v38, v38, v42
	v_add_f16_e32 v39, v39, v44
	v_fma_f16 v42, v4, s20, v40
	v_fma_f16 v40, v4, s21, v40
	;; [unrolled: 1-line block ×3, first 2 shown]
	v_fma_f16 v43, v3, s15, -v43
	v_mul_f16_e32 v6, 0xbb7b, v6
	v_add_f16_e32 v40, v40, v45
	v_mul_f16_e32 v45, 0x3b15, v5
	v_add_f16_e32 v43, v43, v46
	v_fma_f16 v46, v3, s14, v6
	v_mul_f16_e32 v5, 0xb5ac, v5
	v_fma_f16 v3, v3, s14, -v6
	v_add_f16_e32 v2, v3, v2
	v_fma_f16 v3, v4, s2, v5
	v_sub_f16_e32 v6, v9, v10
	v_add_f16_e32 v54, v54, v58
	v_add_f16_e32 v44, v44, v48
	v_fma_f16 v48, v4, s7, v5
	v_add_f16_e32 v1, v3, v1
	v_add_f16_e32 v3, v41, v15
	;; [unrolled: 1-line block ×3, first 2 shown]
	v_mul_f16_e32 v9, 0xb3a8, v6
	v_add_f16_e32 v47, v47, v54
	v_fma_f16 v10, v3, s17, v9
	v_add_f16_e32 v42, v42, v47
	v_fma_f16 v47, v4, s1, v45
	v_fma_f16 v45, v4, s18, v45
	v_sub_f16_e32 v4, v41, v15
	v_add_f16_e32 v10, v10, v11
	v_mul_f16_e32 v11, 0xbbc4, v5
	v_fma_f16 v9, v3, s17, -v9
	v_add_f16_e32 v7, v9, v7
	v_fma_f16 v9, v4, s20, v11
	v_add_f16_e32 v8, v9, v8
	v_mul_f16_e32 v9, 0x3770, v6
	v_fma_f16 v15, v4, s21, v11
	v_fma_f16 v11, v3, s15, v9
	v_add_f16_e32 v11, v11, v14
	v_mul_f16_e32 v14, 0x3b15, v5
	v_fma_f16 v9, v3, s15, -v9
	v_add_f16_e32 v15, v15, v16
	v_fma_f16 v16, v4, s1, v14
	v_add_f16_e32 v9, v9, v13
	v_fma_f16 v13, v4, s18, v14
	v_mul_f16_e32 v14, 0xb94e, v6
	v_add_f16_e32 v13, v13, v17
	v_fma_f16 v17, v3, s16, v14
	v_add_f16_e32 v17, v17, v34
	v_mul_f16_e32 v34, 0xb9fd, v5
	v_fma_f16 v14, v3, s16, -v14
	v_add_f16_e32 v16, v16, v35
	v_fma_f16 v35, v4, s22, v34
	v_add_f16_e32 v14, v14, v18
	v_fma_f16 v18, v4, s23, v34
	v_mul_f16_e32 v34, 0x3a95, v6
	v_add_f16_e32 v35, v35, v38
	v_add_f16_e32 v18, v18, v36
	v_fma_f16 v36, v3, s13, v34
	v_mul_f16_e32 v38, 0x388b, v5
	v_fma_f16 v34, v3, s13, -v34
	v_add_f16_e32 v36, v36, v39
	v_fma_f16 v39, v4, s0, v38
	v_add_f16_e32 v34, v34, v37
	v_fma_f16 v37, v4, s3, v38
	v_mul_f16_e32 v38, 0xbb7b, v6
	v_add_f16_e32 v60, v60, v62
	v_add_f16_e32 v37, v37, v40
	v_fma_f16 v40, v3, s14, v38
	v_fma_f16 v38, v3, s14, -v38
	v_mul_f16_e32 v6, 0x3bf1, v6
	v_add_f16_e32 v59, v59, v64
	v_add_f16_e32 v56, v56, v60
	v_mul_f16_e32 v41, 0xb5ac, v5
	v_add_f16_e32 v38, v38, v43
	v_fma_f16 v43, v3, s12, v6
	v_mul_f16_e32 v5, 0x2fb7, v5
	v_fma_f16 v3, v3, s12, -v6
	v_add_f16_e32 v55, v55, v59
	v_add_f16_e32 v52, v52, v56
	;; [unrolled: 1-line block ×3, first 2 shown]
	v_fma_f16 v3, v4, s19, v5
	v_add_f16_e32 v50, v50, v53
	v_add_f16_e32 v51, v51, v55
	;; [unrolled: 1-line block ×4, first 2 shown]
	v_fma_f16 v42, v4, s7, v41
	v_add_f16_e32 v1, v3, v1
	v_pack_b32_f16 v3, v10, v15
	v_add_f16_e32 v46, v46, v50
	v_add_f16_e32 v48, v48, v51
	;; [unrolled: 1-line block ×4, first 2 shown]
	v_fma_f16 v44, v4, s6, v5
	ds_write2_b32 v20, v0, v3 offset1:13
	v_pack_b32_f16 v0, v11, v16
	v_pack_b32_f16 v3, v17, v35
	v_add_f16_e32 v45, v45, v49
	v_fma_f16 v41, v4, s2, v41
	v_add_f16_e32 v43, v43, v46
	v_add_f16_e32 v44, v44, v48
	ds_write2_b32 v20, v0, v3 offset0:26 offset1:39
	v_pack_b32_f16 v0, v36, v39
	v_pack_b32_f16 v3, v40, v42
	v_add_f16_e32 v41, v41, v45
	ds_write2_b32 v20, v0, v3 offset0:52 offset1:65
	v_pack_b32_f16 v0, v43, v44
	v_pack_b32_f16 v1, v2, v1
	ds_write2_b32 v20, v0, v1 offset0:78 offset1:91
	v_pack_b32_f16 v0, v38, v41
	v_pack_b32_f16 v1, v34, v37
	;; [unrolled: 3-line block ×3, first 2 shown]
	ds_write2_b32 v20, v0, v1 offset0:130 offset1:143
	v_pack_b32_f16 v0, v7, v8
	ds_write_b32 v20, v0 offset:624
	s_waitcnt lgkmcnt(0)
	s_barrier
	ds_read2_b32 v[0:1], v20 offset1:13
	s_mov_b32 s2, 0x7ab2bedd
	s_mov_b32 s3, 0x3f783c97
	s_movk_i32 s6, 0x1ff
	s_movk_i32 s7, 0xffe
	s_waitcnt lgkmcnt(0)
	v_lshrrev_b32_e32 v8, 16, v0
	v_mul_f16_sdwa v2, v33, v8 dst_sel:DWORD dst_unused:UNUSED_PAD src0_sel:WORD_1 src1_sel:DWORD
	v_fma_f16 v2, v33, v0, v2
	v_cvt_f32_f16_e32 v4, v2
	v_mad_u64_u32 v[2:3], s[0:1], s10, v12, 0
	v_mul_f16_sdwa v0, v33, v0 dst_sel:DWORD dst_unused:UNUSED_PAD src0_sel:WORD_1 src1_sel:DWORD
	v_cvt_f64_f32_e32 v[4:5], v4
	v_fma_f16 v0, v33, v8, -v0
	s_movk_i32 s10, 0x40f
	v_mul_f64 v[4:5], v[4:5], s[2:3]
	v_mad_u64_u32 v[6:7], s[0:1], s11, v12, v[3:4]
	v_and_or_b32 v4, v5, s6, v4
	v_cmp_ne_u32_e32 vcc, 0, v4
	v_mov_b32_e32 v3, v6
	v_cndmask_b32_e64 v4, 0, 1, vcc
	v_lshrrev_b32_e32 v6, 8, v5
	v_bfe_u32 v7, v5, 20, 11
	v_and_or_b32 v4, v6, s7, v4
	v_sub_u32_e32 v9, 0x3f1, v7
	v_or_b32_e32 v6, 0x1000, v4
	v_med3_i32 v9, v9, 0, 13
	v_lshrrev_b32_e32 v10, v9, v6
	v_lshlrev_b32_e32 v9, v9, v10
	v_cmp_ne_u32_e32 vcc, v9, v6
	v_cndmask_b32_e64 v6, 0, 1, vcc
	v_add_u32_e32 v9, 0xfffffc10, v7
	v_or_b32_e32 v6, v10, v6
	v_lshl_or_b32 v7, v9, 12, v4
	v_cmp_gt_i32_e32 vcc, 1, v9
	v_cndmask_b32_e32 v6, v7, v6, vcc
	v_and_b32_e32 v7, 7, v6
	v_cmp_lt_i32_e32 vcc, 5, v7
	v_cmp_eq_u32_e64 s[0:1], 3, v7
	v_cvt_f32_f16_e32 v7, v0
	v_lshrrev_b32_e32 v6, 2, v6
	s_or_b64 vcc, s[0:1], vcc
	v_addc_co_u32_e32 v8, vcc, 0, v6, vcc
	v_cvt_f64_f32_e32 v[6:7], v7
	v_mov_b32_e32 v0, 0x7c00
	v_cmp_gt_i32_e32 vcc, 31, v9
	v_cndmask_b32_e32 v8, v0, v8, vcc
	v_mul_f64 v[6:7], v[6:7], s[2:3]
	v_cmp_ne_u32_e32 vcc, 0, v4
	v_cndmask_b32_e64 v4, 0, 1, vcc
	v_lshl_or_b32 v4, v4, 9, v0
	v_cmp_eq_u32_e32 vcc, s10, v9
	v_cndmask_b32_e32 v4, v8, v4, vcc
	v_lshrrev_b32_e32 v5, 16, v5
	s_mov_b32 s11, 0x8000
	v_and_or_b32 v8, v5, s11, v4
	v_and_or_b32 v4, v7, s6, v6
	v_cmp_ne_u32_e32 vcc, 0, v4
	v_cndmask_b32_e64 v4, 0, 1, vcc
	v_lshrrev_b32_e32 v5, 8, v7
	v_bfe_u32 v6, v7, 20, 11
	v_and_or_b32 v4, v5, s7, v4
	v_sub_u32_e32 v9, 0x3f1, v6
	v_or_b32_e32 v5, 0x1000, v4
	v_med3_i32 v9, v9, 0, 13
	v_lshrrev_b32_e32 v10, v9, v5
	v_lshlrev_b32_e32 v9, v9, v10
	v_cmp_ne_u32_e32 vcc, v9, v5
	v_cndmask_b32_e64 v5, 0, 1, vcc
	v_add_u32_e32 v6, 0xfffffc10, v6
	v_or_b32_e32 v5, v10, v5
	v_lshl_or_b32 v9, v6, 12, v4
	v_cmp_gt_i32_e32 vcc, 1, v6
	v_cndmask_b32_e32 v5, v9, v5, vcc
	v_and_b32_e32 v9, 7, v5
	v_cmp_lt_i32_e32 vcc, 5, v9
	v_cmp_eq_u32_e64 s[0:1], 3, v9
	v_lshrrev_b32_e32 v5, 2, v5
	s_or_b64 vcc, s[0:1], vcc
	v_addc_co_u32_e32 v5, vcc, 0, v5, vcc
	v_cmp_gt_i32_e32 vcc, 31, v6
	v_cndmask_b32_e32 v9, v0, v5, vcc
	v_cmp_ne_u32_e32 vcc, 0, v4
	v_cndmask_b32_e64 v4, 0, 1, vcc
	v_lshl_or_b32 v10, v4, 9, v0
	v_mad_u64_u32 v[4:5], s[0:1], s8, v32, 0
	v_cmp_eq_u32_e32 vcc, s10, v6
	v_cndmask_b32_e32 v9, v9, v10, vcc
	v_mad_u64_u32 v[5:6], s[0:1], s9, v32, v[5:6]
	v_lshrrev_b32_e32 v10, 16, v1
	v_mul_f16_sdwa v6, v31, v10 dst_sel:DWORD dst_unused:UNUSED_PAD src0_sel:WORD_1 src1_sel:DWORD
	v_fma_f16 v6, v31, v1, v6
	v_cvt_f32_f16_e32 v6, v6
	v_lshrrev_b32_e32 v7, 16, v7
	v_and_or_b32 v9, v7, s11, v9
	v_lshlrev_b64 v[2:3], 2, v[2:3]
	v_cvt_f64_f32_e32 v[6:7], v6
	v_and_b32_e32 v8, 0xffff, v8
	v_lshl_or_b32 v8, v9, 16, v8
	v_mov_b32_e32 v9, s5
	v_mul_f64 v[6:7], v[6:7], s[2:3]
	v_add_co_u32_e32 v11, vcc, s4, v2
	v_addc_co_u32_e32 v9, vcc, v9, v3, vcc
	v_lshlrev_b64 v[2:3], 2, v[4:5]
	v_mul_f16_sdwa v1, v31, v1 dst_sel:DWORD dst_unused:UNUSED_PAD src0_sel:WORD_1 src1_sel:DWORD
	v_add_co_u32_e32 v2, vcc, v11, v2
	v_addc_co_u32_e32 v3, vcc, v9, v3, vcc
	v_and_or_b32 v4, v7, s6, v6
	v_cmp_ne_u32_e32 vcc, 0, v4
	v_cndmask_b32_e64 v4, 0, 1, vcc
	v_lshrrev_b32_e32 v5, 8, v7
	v_and_or_b32 v6, v5, s7, v4
	v_bfe_u32 v5, v7, 20, 11
	global_store_dword v[2:3], v8, off
	v_sub_u32_e32 v8, 0x3f1, v5
	v_or_b32_e32 v4, 0x1000, v6
	v_med3_i32 v8, v8, 0, 13
	v_lshrrev_b32_e32 v9, v8, v4
	v_lshlrev_b32_e32 v8, v8, v9
	v_cmp_ne_u32_e32 vcc, v8, v4
	v_fma_f16 v1, v31, v10, -v1
	v_cndmask_b32_e64 v4, 0, 1, vcc
	v_add_u32_e32 v8, 0xfffffc10, v5
	v_cvt_f32_f16_e32 v1, v1
	v_or_b32_e32 v4, v9, v4
	v_lshl_or_b32 v5, v8, 12, v6
	v_cmp_gt_i32_e32 vcc, 1, v8
	v_cndmask_b32_e32 v4, v5, v4, vcc
	v_and_b32_e32 v5, 7, v4
	v_cmp_lt_i32_e32 vcc, 5, v5
	v_cmp_eq_u32_e64 s[0:1], 3, v5
	v_lshrrev_b32_e32 v9, 2, v4
	v_cvt_f64_f32_e32 v[4:5], v1
	s_or_b64 vcc, s[0:1], vcc
	v_addc_co_u32_e32 v1, vcc, 0, v9, vcc
	v_mul_f64 v[4:5], v[4:5], s[2:3]
	v_cmp_gt_i32_e32 vcc, 31, v8
	v_cndmask_b32_e32 v1, v0, v1, vcc
	v_cmp_ne_u32_e32 vcc, 0, v6
	v_cndmask_b32_e64 v6, 0, 1, vcc
	v_lshl_or_b32 v6, v6, 9, v0
	v_cmp_eq_u32_e32 vcc, s10, v8
	v_cndmask_b32_e32 v1, v1, v6, vcc
	v_and_or_b32 v4, v5, s6, v4
	v_lshrrev_b32_e32 v6, 16, v7
	v_cmp_ne_u32_e32 vcc, 0, v4
	v_and_or_b32 v1, v6, s11, v1
	v_cndmask_b32_e64 v4, 0, 1, vcc
	v_lshrrev_b32_e32 v6, 8, v5
	v_bfe_u32 v7, v5, 20, 11
	v_and_or_b32 v4, v6, s7, v4
	v_sub_u32_e32 v8, 0x3f1, v7
	v_or_b32_e32 v6, 0x1000, v4
	v_med3_i32 v8, v8, 0, 13
	v_lshrrev_b32_e32 v9, v8, v6
	v_lshlrev_b32_e32 v8, v8, v9
	v_cmp_ne_u32_e32 vcc, v8, v6
	v_cndmask_b32_e64 v6, 0, 1, vcc
	v_add_u32_e32 v8, 0xfffffc10, v7
	v_or_b32_e32 v6, v9, v6
	v_lshl_or_b32 v7, v8, 12, v4
	v_cmp_gt_i32_e32 vcc, 1, v8
	v_cndmask_b32_e32 v6, v7, v6, vcc
	v_and_b32_e32 v7, 7, v6
	v_cmp_lt_i32_e32 vcc, 5, v7
	v_cmp_eq_u32_e64 s[0:1], 3, v7
	v_lshrrev_b32_e32 v6, 2, v6
	s_or_b64 vcc, s[0:1], vcc
	v_addc_co_u32_e32 v6, vcc, 0, v6, vcc
	v_cmp_gt_i32_e32 vcc, 31, v8
	v_cndmask_b32_e32 v9, v0, v6, vcc
	ds_read2_b32 v[6:7], v20 offset0:26 offset1:39
	v_cmp_ne_u32_e32 vcc, 0, v4
	v_cndmask_b32_e64 v4, 0, 1, vcc
	v_lshl_or_b32 v4, v4, 9, v0
	v_cmp_eq_u32_e32 vcc, s10, v8
	s_waitcnt lgkmcnt(0)
	v_lshrrev_b32_e32 v8, 16, v6
	v_cndmask_b32_e32 v4, v9, v4, vcc
	v_mul_f16_sdwa v9, v30, v8 dst_sel:DWORD dst_unused:UNUSED_PAD src0_sel:WORD_1 src1_sel:DWORD
	v_fma_f16 v9, v30, v6, v9
	v_cvt_f32_f16_e32 v9, v9
	v_lshrrev_b32_e32 v5, 16, v5
	v_and_or_b32 v4, v5, s11, v4
	v_and_b32_e32 v1, 0xffff, v1
	v_lshl_or_b32 v10, v4, 16, v1
	v_cvt_f64_f32_e32 v[4:5], v9
	s_mul_i32 s0, s9, 52
	s_mul_hi_u32 s4, s8, 52
	s_add_i32 s4, s4, s0
	v_mul_f64 v[4:5], v[4:5], s[2:3]
	s_mul_i32 s5, s8, 52
	v_mov_b32_e32 v9, s4
	v_add_co_u32_e32 v1, vcc, s5, v2
	v_addc_co_u32_e32 v2, vcc, v3, v9, vcc
	global_store_dword v[1:2], v10, off
	v_and_or_b32 v3, v5, s6, v4
	v_cmp_ne_u32_e32 vcc, 0, v3
	v_cndmask_b32_e64 v3, 0, 1, vcc
	v_lshrrev_b32_e32 v4, 8, v5
	v_and_or_b32 v9, v4, s7, v3
	v_bfe_u32 v4, v5, 20, 11
	v_sub_u32_e32 v10, 0x3f1, v4
	v_or_b32_e32 v3, 0x1000, v9
	v_med3_i32 v10, v10, 0, 13
	v_lshrrev_b32_e32 v11, v10, v3
	v_lshlrev_b32_e32 v10, v10, v11
	v_mul_f16_sdwa v6, v30, v6 dst_sel:DWORD dst_unused:UNUSED_PAD src0_sel:WORD_1 src1_sel:DWORD
	v_cmp_ne_u32_e32 vcc, v10, v3
	v_fma_f16 v6, v30, v8, -v6
	v_cndmask_b32_e64 v3, 0, 1, vcc
	v_add_u32_e32 v10, 0xfffffc10, v4
	v_cvt_f32_f16_e32 v6, v6
	v_or_b32_e32 v3, v11, v3
	v_lshl_or_b32 v4, v10, 12, v9
	v_cmp_gt_i32_e32 vcc, 1, v10
	v_cndmask_b32_e32 v3, v4, v3, vcc
	v_and_b32_e32 v4, 7, v3
	v_cmp_lt_i32_e32 vcc, 5, v4
	v_cmp_eq_u32_e64 s[0:1], 3, v4
	v_lshrrev_b32_e32 v8, 2, v3
	v_cvt_f64_f32_e32 v[3:4], v6
	s_or_b64 vcc, s[0:1], vcc
	v_addc_co_u32_e32 v6, vcc, 0, v8, vcc
	v_mul_f64 v[3:4], v[3:4], s[2:3]
	v_cmp_gt_i32_e32 vcc, 31, v10
	v_cndmask_b32_e32 v6, v0, v6, vcc
	v_cmp_ne_u32_e32 vcc, 0, v9
	v_cndmask_b32_e64 v8, 0, 1, vcc
	v_lshl_or_b32 v8, v8, 9, v0
	v_cmp_eq_u32_e32 vcc, s10, v10
	v_cndmask_b32_e32 v6, v6, v8, vcc
	v_and_or_b32 v3, v4, s6, v3
	v_lshrrev_b32_e32 v5, 16, v5
	v_cmp_ne_u32_e32 vcc, 0, v3
	v_and_or_b32 v8, v5, s11, v6
	v_cndmask_b32_e64 v3, 0, 1, vcc
	v_lshrrev_b32_e32 v5, 8, v4
	v_bfe_u32 v6, v4, 20, 11
	v_and_or_b32 v3, v5, s7, v3
	v_sub_u32_e32 v9, 0x3f1, v6
	v_or_b32_e32 v5, 0x1000, v3
	v_med3_i32 v9, v9, 0, 13
	v_lshrrev_b32_e32 v10, v9, v5
	v_lshlrev_b32_e32 v9, v9, v10
	v_cmp_ne_u32_e32 vcc, v9, v5
	v_cndmask_b32_e64 v5, 0, 1, vcc
	v_add_u32_e32 v6, 0xfffffc10, v6
	v_or_b32_e32 v5, v10, v5
	v_lshl_or_b32 v9, v6, 12, v3
	v_cmp_gt_i32_e32 vcc, 1, v6
	v_cndmask_b32_e32 v5, v9, v5, vcc
	v_and_b32_e32 v9, 7, v5
	v_cmp_lt_i32_e32 vcc, 5, v9
	v_cmp_eq_u32_e64 s[0:1], 3, v9
	v_lshrrev_b32_e32 v9, 16, v7
	v_lshrrev_b32_e32 v5, 2, v5
	s_or_b64 vcc, s[0:1], vcc
	v_mul_f16_sdwa v10, v29, v9 dst_sel:DWORD dst_unused:UNUSED_PAD src0_sel:WORD_1 src1_sel:DWORD
	v_addc_co_u32_e32 v5, vcc, 0, v5, vcc
	v_fma_f16 v10, v29, v7, v10
	v_cmp_gt_i32_e32 vcc, 31, v6
	v_cvt_f32_f16_e32 v10, v10
	v_cndmask_b32_e32 v5, v0, v5, vcc
	v_cmp_ne_u32_e32 vcc, 0, v3
	v_cndmask_b32_e64 v3, 0, 1, vcc
	v_lshl_or_b32 v3, v3, 9, v0
	v_cmp_eq_u32_e32 vcc, s10, v6
	v_cndmask_b32_e32 v3, v5, v3, vcc
	v_cvt_f64_f32_e32 v[5:6], v10
	v_lshrrev_b32_e32 v4, 16, v4
	v_and_or_b32 v10, v4, s11, v3
	v_add_co_u32_e32 v1, vcc, s5, v1
	v_mul_f64 v[3:4], v[5:6], s[2:3]
	v_mov_b32_e32 v6, s4
	v_and_b32_e32 v8, 0xffff, v8
	v_addc_co_u32_e32 v2, vcc, v2, v6, vcc
	v_lshl_or_b32 v5, v10, 16, v8
	global_store_dword v[1:2], v5, off
	v_mul_f16_sdwa v7, v29, v7 dst_sel:DWORD dst_unused:UNUSED_PAD src0_sel:WORD_1 src1_sel:DWORD
	v_and_or_b32 v3, v4, s6, v3
	v_cmp_ne_u32_e32 vcc, 0, v3
	v_cndmask_b32_e64 v3, 0, 1, vcc
	v_lshrrev_b32_e32 v5, 8, v4
	v_bfe_u32 v6, v4, 20, 11
	v_and_or_b32 v3, v5, s7, v3
	v_sub_u32_e32 v8, 0x3f1, v6
	v_or_b32_e32 v5, 0x1000, v3
	v_med3_i32 v8, v8, 0, 13
	v_lshrrev_b32_e32 v10, v8, v5
	v_lshlrev_b32_e32 v8, v8, v10
	v_cmp_ne_u32_e32 vcc, v8, v5
	v_fma_f16 v7, v29, v9, -v7
	v_cndmask_b32_e64 v5, 0, 1, vcc
	v_add_u32_e32 v8, 0xfffffc10, v6
	v_cvt_f32_f16_e32 v7, v7
	v_or_b32_e32 v5, v10, v5
	v_lshl_or_b32 v6, v8, 12, v3
	v_cmp_gt_i32_e32 vcc, 1, v8
	v_cndmask_b32_e32 v5, v6, v5, vcc
	v_and_b32_e32 v6, 7, v5
	v_cmp_lt_i32_e32 vcc, 5, v6
	v_cmp_eq_u32_e64 s[0:1], 3, v6
	v_lshrrev_b32_e32 v9, 2, v5
	v_cvt_f64_f32_e32 v[5:6], v7
	s_or_b64 vcc, s[0:1], vcc
	v_addc_co_u32_e32 v7, vcc, 0, v9, vcc
	v_mul_f64 v[5:6], v[5:6], s[2:3]
	v_cmp_gt_i32_e32 vcc, 31, v8
	v_cndmask_b32_e32 v7, v0, v7, vcc
	v_cmp_ne_u32_e32 vcc, 0, v3
	v_cndmask_b32_e64 v3, 0, 1, vcc
	v_lshl_or_b32 v3, v3, 9, v0
	v_cmp_eq_u32_e32 vcc, s10, v8
	v_cndmask_b32_e32 v3, v7, v3, vcc
	v_lshrrev_b32_e32 v4, 16, v4
	v_and_or_b32 v9, v4, s11, v3
	v_and_or_b32 v3, v6, s6, v5
	v_cmp_ne_u32_e32 vcc, 0, v3
	v_cndmask_b32_e64 v3, 0, 1, vcc
	v_lshrrev_b32_e32 v4, 8, v6
	v_and_or_b32 v5, v4, s7, v3
	v_bfe_u32 v4, v6, 20, 11
	v_sub_u32_e32 v7, 0x3f1, v4
	v_or_b32_e32 v3, 0x1000, v5
	v_med3_i32 v7, v7, 0, 13
	v_lshrrev_b32_e32 v8, v7, v3
	v_lshlrev_b32_e32 v7, v7, v8
	v_cmp_ne_u32_e32 vcc, v7, v3
	v_cndmask_b32_e64 v3, 0, 1, vcc
	v_add_u32_e32 v7, 0xfffffc10, v4
	v_or_b32_e32 v3, v8, v3
	v_lshl_or_b32 v4, v7, 12, v5
	v_cmp_gt_i32_e32 vcc, 1, v7
	v_cndmask_b32_e32 v3, v4, v3, vcc
	v_and_b32_e32 v4, 7, v3
	v_cmp_lt_i32_e32 vcc, 5, v4
	v_cmp_eq_u32_e64 s[0:1], 3, v4
	v_lshrrev_b32_e32 v3, 2, v3
	s_or_b64 vcc, s[0:1], vcc
	v_addc_co_u32_e32 v8, vcc, 0, v3, vcc
	ds_read2_b32 v[3:4], v20 offset0:52 offset1:65
	v_cmp_gt_i32_e32 vcc, 31, v7
	v_cndmask_b32_e32 v8, v0, v8, vcc
	v_cmp_ne_u32_e32 vcc, 0, v5
	v_cndmask_b32_e64 v5, 0, 1, vcc
	s_waitcnt lgkmcnt(0)
	v_lshrrev_b32_e32 v10, 16, v3
	v_mul_f16_sdwa v11, v28, v10 dst_sel:DWORD dst_unused:UNUSED_PAD src0_sel:WORD_1 src1_sel:DWORD
	v_fma_f16 v11, v28, v3, v11
	v_cvt_f32_f16_e32 v11, v11
	v_lshl_or_b32 v5, v5, 9, v0
	v_cmp_eq_u32_e32 vcc, s10, v7
	v_cndmask_b32_e32 v5, v8, v5, vcc
	v_cvt_f64_f32_e32 v[7:8], v11
	v_lshrrev_b32_e32 v6, 16, v6
	v_and_or_b32 v11, v6, s11, v5
	v_add_co_u32_e32 v1, vcc, s5, v1
	v_mul_f64 v[5:6], v[7:8], s[2:3]
	v_mov_b32_e32 v8, s4
	v_and_b32_e32 v9, 0xffff, v9
	v_addc_co_u32_e32 v2, vcc, v2, v8, vcc
	v_lshl_or_b32 v7, v11, 16, v9
	global_store_dword v[1:2], v7, off
	v_mul_f16_sdwa v3, v28, v3 dst_sel:DWORD dst_unused:UNUSED_PAD src0_sel:WORD_1 src1_sel:DWORD
	v_and_or_b32 v5, v6, s6, v5
	v_cmp_ne_u32_e32 vcc, 0, v5
	v_cndmask_b32_e64 v5, 0, 1, vcc
	v_lshrrev_b32_e32 v7, 8, v6
	v_bfe_u32 v8, v6, 20, 11
	v_and_or_b32 v5, v7, s7, v5
	v_sub_u32_e32 v9, 0x3f1, v8
	v_or_b32_e32 v7, 0x1000, v5
	v_med3_i32 v9, v9, 0, 13
	v_lshrrev_b32_e32 v11, v9, v7
	v_lshlrev_b32_e32 v9, v9, v11
	v_cmp_ne_u32_e32 vcc, v9, v7
	v_fma_f16 v3, v28, v10, -v3
	v_cndmask_b32_e64 v7, 0, 1, vcc
	v_add_u32_e32 v9, 0xfffffc10, v8
	v_cvt_f32_f16_e32 v3, v3
	v_or_b32_e32 v7, v11, v7
	v_lshl_or_b32 v8, v9, 12, v5
	v_cmp_gt_i32_e32 vcc, 1, v9
	v_cndmask_b32_e32 v7, v8, v7, vcc
	v_and_b32_e32 v8, 7, v7
	v_cmp_lt_i32_e32 vcc, 5, v8
	v_cmp_eq_u32_e64 s[0:1], 3, v8
	v_lshrrev_b32_e32 v10, 2, v7
	v_cvt_f64_f32_e32 v[7:8], v3
	s_or_b64 vcc, s[0:1], vcc
	v_addc_co_u32_e32 v3, vcc, 0, v10, vcc
	v_mul_f64 v[7:8], v[7:8], s[2:3]
	v_cmp_gt_i32_e32 vcc, 31, v9
	v_cndmask_b32_e32 v3, v0, v3, vcc
	v_cmp_ne_u32_e32 vcc, 0, v5
	v_cndmask_b32_e64 v5, 0, 1, vcc
	v_lshl_or_b32 v5, v5, 9, v0
	v_cmp_eq_u32_e32 vcc, s10, v9
	v_cndmask_b32_e32 v3, v3, v5, vcc
	v_lshrrev_b32_e32 v5, 16, v6
	v_and_or_b32 v3, v5, s11, v3
	v_and_or_b32 v5, v8, s6, v7
	v_cmp_ne_u32_e32 vcc, 0, v5
	v_cndmask_b32_e64 v5, 0, 1, vcc
	v_lshrrev_b32_e32 v6, 8, v8
	v_bfe_u32 v7, v8, 20, 11
	v_and_or_b32 v5, v6, s7, v5
	v_sub_u32_e32 v9, 0x3f1, v7
	v_or_b32_e32 v6, 0x1000, v5
	v_med3_i32 v9, v9, 0, 13
	v_lshrrev_b32_e32 v10, v9, v6
	v_lshlrev_b32_e32 v9, v9, v10
	v_cmp_ne_u32_e32 vcc, v9, v6
	v_cndmask_b32_e64 v6, 0, 1, vcc
	v_add_u32_e32 v7, 0xfffffc10, v7
	v_or_b32_e32 v6, v10, v6
	v_lshl_or_b32 v9, v7, 12, v5
	v_cmp_gt_i32_e32 vcc, 1, v7
	v_cndmask_b32_e32 v6, v9, v6, vcc
	v_and_b32_e32 v9, 7, v6
	v_cmp_lt_i32_e32 vcc, 5, v9
	v_cmp_eq_u32_e64 s[0:1], 3, v9
	v_lshrrev_b32_e32 v9, 16, v4
	v_lshrrev_b32_e32 v6, 2, v6
	s_or_b64 vcc, s[0:1], vcc
	v_mul_f16_sdwa v10, v27, v9 dst_sel:DWORD dst_unused:UNUSED_PAD src0_sel:WORD_1 src1_sel:DWORD
	v_addc_co_u32_e32 v6, vcc, 0, v6, vcc
	v_fma_f16 v10, v27, v4, v10
	v_cmp_gt_i32_e32 vcc, 31, v7
	v_cvt_f32_f16_e32 v10, v10
	v_cndmask_b32_e32 v6, v0, v6, vcc
	v_cmp_ne_u32_e32 vcc, 0, v5
	v_cndmask_b32_e64 v5, 0, 1, vcc
	v_lshl_or_b32 v5, v5, 9, v0
	v_cmp_eq_u32_e32 vcc, s10, v7
	v_cndmask_b32_e32 v7, v6, v5, vcc
	v_cvt_f64_f32_e32 v[5:6], v10
	v_lshrrev_b32_e32 v8, 16, v8
	v_and_or_b32 v7, v8, s11, v7
	v_and_b32_e32 v3, 0xffff, v3
	v_mul_f64 v[5:6], v[5:6], s[2:3]
	v_lshl_or_b32 v3, v7, 16, v3
	v_mov_b32_e32 v7, s4
	v_add_co_u32_e32 v1, vcc, s5, v1
	v_addc_co_u32_e32 v2, vcc, v2, v7, vcc
	global_store_dword v[1:2], v3, off
	v_and_or_b32 v3, v6, s6, v5
	v_cmp_ne_u32_e32 vcc, 0, v3
	v_cndmask_b32_e64 v3, 0, 1, vcc
	v_lshrrev_b32_e32 v5, 8, v6
	v_bfe_u32 v7, v6, 20, 11
	v_and_or_b32 v5, v5, s7, v3
	v_sub_u32_e32 v8, 0x3f1, v7
	v_or_b32_e32 v3, 0x1000, v5
	v_med3_i32 v8, v8, 0, 13
	v_lshrrev_b32_e32 v10, v8, v3
	v_lshlrev_b32_e32 v8, v8, v10
	v_mul_f16_sdwa v4, v27, v4 dst_sel:DWORD dst_unused:UNUSED_PAD src0_sel:WORD_1 src1_sel:DWORD
	v_cmp_ne_u32_e32 vcc, v8, v3
	v_fma_f16 v4, v27, v9, -v4
	v_cndmask_b32_e64 v3, 0, 1, vcc
	v_add_u32_e32 v7, 0xfffffc10, v7
	v_cvt_f32_f16_e32 v4, v4
	v_or_b32_e32 v3, v10, v3
	v_lshl_or_b32 v8, v7, 12, v5
	v_cmp_gt_i32_e32 vcc, 1, v7
	v_cndmask_b32_e32 v3, v8, v3, vcc
	v_and_b32_e32 v8, 7, v3
	v_cmp_lt_i32_e32 vcc, 5, v8
	v_cmp_eq_u32_e64 s[0:1], 3, v8
	v_lshrrev_b32_e32 v8, 2, v3
	v_cvt_f64_f32_e32 v[3:4], v4
	s_or_b64 vcc, s[0:1], vcc
	v_addc_co_u32_e32 v8, vcc, 0, v8, vcc
	v_mul_f64 v[3:4], v[3:4], s[2:3]
	v_cmp_gt_i32_e32 vcc, 31, v7
	v_cndmask_b32_e32 v8, v0, v8, vcc
	v_cmp_ne_u32_e32 vcc, 0, v5
	v_cndmask_b32_e64 v5, 0, 1, vcc
	v_lshl_or_b32 v5, v5, 9, v0
	v_cmp_eq_u32_e32 vcc, s10, v7
	v_cndmask_b32_e32 v5, v8, v5, vcc
	v_and_or_b32 v3, v4, s6, v3
	v_lshrrev_b32_e32 v6, 16, v6
	v_cmp_ne_u32_e32 vcc, 0, v3
	v_and_or_b32 v9, v6, s11, v5
	v_cndmask_b32_e64 v3, 0, 1, vcc
	v_lshrrev_b32_e32 v5, 8, v4
	v_bfe_u32 v6, v4, 20, 11
	v_and_or_b32 v3, v5, s7, v3
	v_sub_u32_e32 v7, 0x3f1, v6
	v_or_b32_e32 v5, 0x1000, v3
	v_med3_i32 v7, v7, 0, 13
	v_lshrrev_b32_e32 v8, v7, v5
	v_lshlrev_b32_e32 v7, v7, v8
	v_cmp_ne_u32_e32 vcc, v7, v5
	v_cndmask_b32_e64 v5, 0, 1, vcc
	v_add_u32_e32 v7, 0xfffffc10, v6
	v_or_b32_e32 v5, v8, v5
	v_lshl_or_b32 v6, v7, 12, v3
	v_cmp_gt_i32_e32 vcc, 1, v7
	v_cndmask_b32_e32 v5, v6, v5, vcc
	v_and_b32_e32 v6, 7, v5
	v_cmp_lt_i32_e32 vcc, 5, v6
	v_cmp_eq_u32_e64 s[0:1], 3, v6
	v_lshrrev_b32_e32 v5, 2, v5
	s_or_b64 vcc, s[0:1], vcc
	v_addc_co_u32_e32 v8, vcc, 0, v5, vcc
	ds_read2_b32 v[5:6], v20 offset0:78 offset1:91
	v_cmp_gt_i32_e32 vcc, 31, v7
	v_cndmask_b32_e32 v8, v0, v8, vcc
	v_cmp_ne_u32_e32 vcc, 0, v3
	v_cndmask_b32_e64 v3, 0, 1, vcc
	s_waitcnt lgkmcnt(0)
	v_lshrrev_b32_e32 v10, 16, v5
	v_mul_f16_sdwa v11, v26, v10 dst_sel:DWORD dst_unused:UNUSED_PAD src0_sel:WORD_1 src1_sel:DWORD
	v_fma_f16 v11, v26, v5, v11
	v_cvt_f32_f16_e32 v11, v11
	v_lshl_or_b32 v3, v3, 9, v0
	v_cmp_eq_u32_e32 vcc, s10, v7
	v_cndmask_b32_e32 v3, v8, v3, vcc
	v_cvt_f64_f32_e32 v[7:8], v11
	v_lshrrev_b32_e32 v4, 16, v4
	v_and_or_b32 v11, v4, s11, v3
	v_add_co_u32_e32 v1, vcc, s5, v1
	v_mul_f64 v[3:4], v[7:8], s[2:3]
	v_mov_b32_e32 v8, s4
	v_and_b32_e32 v9, 0xffff, v9
	v_addc_co_u32_e32 v2, vcc, v2, v8, vcc
	v_lshl_or_b32 v7, v11, 16, v9
	global_store_dword v[1:2], v7, off
	v_mul_f16_sdwa v5, v26, v5 dst_sel:DWORD dst_unused:UNUSED_PAD src0_sel:WORD_1 src1_sel:DWORD
	v_and_or_b32 v3, v4, s6, v3
	v_cmp_ne_u32_e32 vcc, 0, v3
	v_cndmask_b32_e64 v3, 0, 1, vcc
	v_lshrrev_b32_e32 v7, 8, v4
	v_bfe_u32 v8, v4, 20, 11
	v_and_or_b32 v3, v7, s7, v3
	v_sub_u32_e32 v9, 0x3f1, v8
	v_or_b32_e32 v7, 0x1000, v3
	v_med3_i32 v9, v9, 0, 13
	v_lshrrev_b32_e32 v11, v9, v7
	v_lshlrev_b32_e32 v9, v9, v11
	v_cmp_ne_u32_e32 vcc, v9, v7
	v_fma_f16 v5, v26, v10, -v5
	v_cndmask_b32_e64 v7, 0, 1, vcc
	v_add_u32_e32 v9, 0xfffffc10, v8
	v_cvt_f32_f16_e32 v5, v5
	v_or_b32_e32 v7, v11, v7
	v_lshl_or_b32 v8, v9, 12, v3
	v_cmp_gt_i32_e32 vcc, 1, v9
	v_cndmask_b32_e32 v7, v8, v7, vcc
	v_and_b32_e32 v8, 7, v7
	v_cmp_lt_i32_e32 vcc, 5, v8
	v_cmp_eq_u32_e64 s[0:1], 3, v8
	v_lshrrev_b32_e32 v10, 2, v7
	v_cvt_f64_f32_e32 v[7:8], v5
	s_or_b64 vcc, s[0:1], vcc
	v_addc_co_u32_e32 v5, vcc, 0, v10, vcc
	v_mul_f64 v[7:8], v[7:8], s[2:3]
	v_cmp_gt_i32_e32 vcc, 31, v9
	v_cndmask_b32_e32 v5, v0, v5, vcc
	v_cmp_ne_u32_e32 vcc, 0, v3
	v_cndmask_b32_e64 v3, 0, 1, vcc
	v_lshl_or_b32 v3, v3, 9, v0
	v_cmp_eq_u32_e32 vcc, s10, v9
	v_cndmask_b32_e32 v3, v5, v3, vcc
	v_lshrrev_b32_e32 v4, 16, v4
	v_and_or_b32 v5, v4, s11, v3
	v_and_or_b32 v3, v8, s6, v7
	v_cmp_ne_u32_e32 vcc, 0, v3
	v_cndmask_b32_e64 v3, 0, 1, vcc
	v_lshrrev_b32_e32 v4, 8, v8
	v_bfe_u32 v7, v8, 20, 11
	v_and_or_b32 v3, v4, s7, v3
	v_sub_u32_e32 v9, 0x3f1, v7
	v_or_b32_e32 v4, 0x1000, v3
	v_med3_i32 v9, v9, 0, 13
	v_lshrrev_b32_e32 v10, v9, v4
	v_lshlrev_b32_e32 v9, v9, v10
	v_cmp_ne_u32_e32 vcc, v9, v4
	v_cndmask_b32_e64 v4, 0, 1, vcc
	v_add_u32_e32 v7, 0xfffffc10, v7
	v_or_b32_e32 v4, v10, v4
	v_lshl_or_b32 v9, v7, 12, v3
	v_cmp_gt_i32_e32 vcc, 1, v7
	v_cndmask_b32_e32 v4, v9, v4, vcc
	v_and_b32_e32 v9, 7, v4
	v_cmp_lt_i32_e32 vcc, 5, v9
	v_cmp_eq_u32_e64 s[0:1], 3, v9
	v_lshrrev_b32_e32 v9, 16, v6
	v_lshrrev_b32_e32 v4, 2, v4
	s_or_b64 vcc, s[0:1], vcc
	v_mul_f16_sdwa v10, v25, v9 dst_sel:DWORD dst_unused:UNUSED_PAD src0_sel:WORD_1 src1_sel:DWORD
	v_addc_co_u32_e32 v4, vcc, 0, v4, vcc
	v_fma_f16 v10, v25, v6, v10
	v_cmp_gt_i32_e32 vcc, 31, v7
	v_cvt_f32_f16_e32 v10, v10
	v_cndmask_b32_e32 v4, v0, v4, vcc
	v_cmp_ne_u32_e32 vcc, 0, v3
	v_cndmask_b32_e64 v3, 0, 1, vcc
	v_lshl_or_b32 v3, v3, 9, v0
	v_cmp_eq_u32_e32 vcc, s10, v7
	v_cndmask_b32_e32 v7, v4, v3, vcc
	v_cvt_f64_f32_e32 v[3:4], v10
	v_lshrrev_b32_e32 v8, 16, v8
	v_and_or_b32 v7, v8, s11, v7
	v_and_b32_e32 v5, 0xffff, v5
	v_mul_f64 v[3:4], v[3:4], s[2:3]
	v_lshl_or_b32 v5, v7, 16, v5
	v_mov_b32_e32 v7, s4
	v_add_co_u32_e32 v1, vcc, s5, v1
	v_addc_co_u32_e32 v2, vcc, v2, v7, vcc
	global_store_dword v[1:2], v5, off
	v_and_or_b32 v3, v4, s6, v3
	v_cmp_ne_u32_e32 vcc, 0, v3
	v_cndmask_b32_e64 v3, 0, 1, vcc
	v_lshrrev_b32_e32 v5, 8, v4
	v_bfe_u32 v7, v4, 20, 11
	v_and_or_b32 v3, v5, s7, v3
	v_sub_u32_e32 v8, 0x3f1, v7
	v_or_b32_e32 v5, 0x1000, v3
	v_med3_i32 v8, v8, 0, 13
	v_lshrrev_b32_e32 v10, v8, v5
	v_lshlrev_b32_e32 v8, v8, v10
	v_mul_f16_sdwa v6, v25, v6 dst_sel:DWORD dst_unused:UNUSED_PAD src0_sel:WORD_1 src1_sel:DWORD
	v_cmp_ne_u32_e32 vcc, v8, v5
	v_fma_f16 v6, v25, v9, -v6
	v_cndmask_b32_e64 v5, 0, 1, vcc
	v_add_u32_e32 v7, 0xfffffc10, v7
	v_cvt_f32_f16_e32 v6, v6
	v_or_b32_e32 v5, v10, v5
	v_lshl_or_b32 v8, v7, 12, v3
	v_cmp_gt_i32_e32 vcc, 1, v7
	v_cndmask_b32_e32 v5, v8, v5, vcc
	v_and_b32_e32 v8, 7, v5
	v_cmp_lt_i32_e32 vcc, 5, v8
	v_cmp_eq_u32_e64 s[0:1], 3, v8
	v_lshrrev_b32_e32 v8, 2, v5
	v_cvt_f64_f32_e32 v[5:6], v6
	s_or_b64 vcc, s[0:1], vcc
	v_addc_co_u32_e32 v8, vcc, 0, v8, vcc
	v_mul_f64 v[5:6], v[5:6], s[2:3]
	v_cmp_gt_i32_e32 vcc, 31, v7
	v_cndmask_b32_e32 v8, v0, v8, vcc
	v_cmp_ne_u32_e32 vcc, 0, v3
	v_cndmask_b32_e64 v3, 0, 1, vcc
	v_lshl_or_b32 v3, v3, 9, v0
	v_cmp_eq_u32_e32 vcc, s10, v7
	v_cndmask_b32_e32 v3, v8, v3, vcc
	v_lshrrev_b32_e32 v4, 16, v4
	v_and_or_b32 v9, v4, s11, v3
	v_and_or_b32 v3, v6, s6, v5
	v_cmp_ne_u32_e32 vcc, 0, v3
	v_cndmask_b32_e64 v3, 0, 1, vcc
	v_lshrrev_b32_e32 v4, 8, v6
	v_and_or_b32 v5, v4, s7, v3
	v_bfe_u32 v4, v6, 20, 11
	v_sub_u32_e32 v7, 0x3f1, v4
	v_or_b32_e32 v3, 0x1000, v5
	v_med3_i32 v7, v7, 0, 13
	v_lshrrev_b32_e32 v8, v7, v3
	v_lshlrev_b32_e32 v7, v7, v8
	v_cmp_ne_u32_e32 vcc, v7, v3
	v_cndmask_b32_e64 v3, 0, 1, vcc
	v_add_u32_e32 v7, 0xfffffc10, v4
	v_or_b32_e32 v3, v8, v3
	v_lshl_or_b32 v4, v7, 12, v5
	v_cmp_gt_i32_e32 vcc, 1, v7
	v_cndmask_b32_e32 v3, v4, v3, vcc
	v_and_b32_e32 v4, 7, v3
	v_cmp_lt_i32_e32 vcc, 5, v4
	v_cmp_eq_u32_e64 s[0:1], 3, v4
	v_lshrrev_b32_e32 v3, 2, v3
	s_or_b64 vcc, s[0:1], vcc
	v_addc_co_u32_e32 v8, vcc, 0, v3, vcc
	ds_read2_b32 v[3:4], v20 offset0:104 offset1:117
	v_cmp_gt_i32_e32 vcc, 31, v7
	v_cndmask_b32_e32 v8, v0, v8, vcc
	v_cmp_ne_u32_e32 vcc, 0, v5
	v_cndmask_b32_e64 v5, 0, 1, vcc
	s_waitcnt lgkmcnt(0)
	v_lshrrev_b32_e32 v10, 16, v3
	v_mul_f16_sdwa v11, v24, v10 dst_sel:DWORD dst_unused:UNUSED_PAD src0_sel:WORD_1 src1_sel:DWORD
	v_fma_f16 v11, v24, v3, v11
	v_cvt_f32_f16_e32 v11, v11
	v_lshl_or_b32 v5, v5, 9, v0
	v_cmp_eq_u32_e32 vcc, s10, v7
	v_cndmask_b32_e32 v5, v8, v5, vcc
	v_cvt_f64_f32_e32 v[7:8], v11
	v_lshrrev_b32_e32 v6, 16, v6
	v_and_or_b32 v11, v6, s11, v5
	v_add_co_u32_e32 v1, vcc, s5, v1
	v_mul_f64 v[5:6], v[7:8], s[2:3]
	v_mov_b32_e32 v8, s4
	v_and_b32_e32 v9, 0xffff, v9
	v_addc_co_u32_e32 v2, vcc, v2, v8, vcc
	v_lshl_or_b32 v7, v11, 16, v9
	global_store_dword v[1:2], v7, off
	v_mul_f16_sdwa v3, v24, v3 dst_sel:DWORD dst_unused:UNUSED_PAD src0_sel:WORD_1 src1_sel:DWORD
	v_and_or_b32 v5, v6, s6, v5
	v_cmp_ne_u32_e32 vcc, 0, v5
	v_cndmask_b32_e64 v5, 0, 1, vcc
	v_lshrrev_b32_e32 v7, 8, v6
	v_bfe_u32 v8, v6, 20, 11
	v_and_or_b32 v5, v7, s7, v5
	v_sub_u32_e32 v9, 0x3f1, v8
	v_or_b32_e32 v7, 0x1000, v5
	v_med3_i32 v9, v9, 0, 13
	v_lshrrev_b32_e32 v11, v9, v7
	v_lshlrev_b32_e32 v9, v9, v11
	v_cmp_ne_u32_e32 vcc, v9, v7
	v_fma_f16 v3, v24, v10, -v3
	v_cndmask_b32_e64 v7, 0, 1, vcc
	v_add_u32_e32 v9, 0xfffffc10, v8
	v_cvt_f32_f16_e32 v3, v3
	v_or_b32_e32 v7, v11, v7
	v_lshl_or_b32 v8, v9, 12, v5
	v_cmp_gt_i32_e32 vcc, 1, v9
	v_cndmask_b32_e32 v7, v8, v7, vcc
	v_and_b32_e32 v8, 7, v7
	v_cmp_lt_i32_e32 vcc, 5, v8
	v_cmp_eq_u32_e64 s[0:1], 3, v8
	v_lshrrev_b32_e32 v10, 2, v7
	v_cvt_f64_f32_e32 v[7:8], v3
	s_or_b64 vcc, s[0:1], vcc
	v_addc_co_u32_e32 v3, vcc, 0, v10, vcc
	v_mul_f64 v[7:8], v[7:8], s[2:3]
	v_cmp_gt_i32_e32 vcc, 31, v9
	v_cndmask_b32_e32 v3, v0, v3, vcc
	v_cmp_ne_u32_e32 vcc, 0, v5
	v_cndmask_b32_e64 v5, 0, 1, vcc
	v_lshl_or_b32 v5, v5, 9, v0
	v_cmp_eq_u32_e32 vcc, s10, v9
	v_cndmask_b32_e32 v3, v3, v5, vcc
	v_lshrrev_b32_e32 v5, 16, v6
	v_and_or_b32 v3, v5, s11, v3
	v_and_or_b32 v5, v8, s6, v7
	v_cmp_ne_u32_e32 vcc, 0, v5
	v_cndmask_b32_e64 v5, 0, 1, vcc
	v_lshrrev_b32_e32 v6, 8, v8
	v_bfe_u32 v7, v8, 20, 11
	v_and_or_b32 v5, v6, s7, v5
	v_sub_u32_e32 v9, 0x3f1, v7
	v_or_b32_e32 v6, 0x1000, v5
	v_med3_i32 v9, v9, 0, 13
	v_lshrrev_b32_e32 v10, v9, v6
	v_lshlrev_b32_e32 v9, v9, v10
	v_cmp_ne_u32_e32 vcc, v9, v6
	v_cndmask_b32_e64 v6, 0, 1, vcc
	v_add_u32_e32 v7, 0xfffffc10, v7
	v_or_b32_e32 v6, v10, v6
	v_lshl_or_b32 v9, v7, 12, v5
	v_cmp_gt_i32_e32 vcc, 1, v7
	v_cndmask_b32_e32 v6, v9, v6, vcc
	v_and_b32_e32 v9, 7, v6
	v_cmp_lt_i32_e32 vcc, 5, v9
	v_cmp_eq_u32_e64 s[0:1], 3, v9
	v_lshrrev_b32_e32 v9, 16, v4
	v_lshrrev_b32_e32 v6, 2, v6
	s_or_b64 vcc, s[0:1], vcc
	v_mul_f16_sdwa v10, v23, v9 dst_sel:DWORD dst_unused:UNUSED_PAD src0_sel:WORD_1 src1_sel:DWORD
	v_addc_co_u32_e32 v6, vcc, 0, v6, vcc
	v_fma_f16 v10, v23, v4, v10
	v_cmp_gt_i32_e32 vcc, 31, v7
	v_cvt_f32_f16_e32 v10, v10
	v_cndmask_b32_e32 v6, v0, v6, vcc
	v_cmp_ne_u32_e32 vcc, 0, v5
	v_cndmask_b32_e64 v5, 0, 1, vcc
	v_lshl_or_b32 v5, v5, 9, v0
	v_cmp_eq_u32_e32 vcc, s10, v7
	v_cndmask_b32_e32 v7, v6, v5, vcc
	v_cvt_f64_f32_e32 v[5:6], v10
	v_lshrrev_b32_e32 v8, 16, v8
	v_and_or_b32 v7, v8, s11, v7
	v_and_b32_e32 v3, 0xffff, v3
	v_mul_f64 v[5:6], v[5:6], s[2:3]
	v_lshl_or_b32 v3, v7, 16, v3
	v_mov_b32_e32 v7, s4
	v_add_co_u32_e32 v1, vcc, s5, v1
	v_addc_co_u32_e32 v2, vcc, v2, v7, vcc
	global_store_dword v[1:2], v3, off
	v_and_or_b32 v3, v6, s6, v5
	v_cmp_ne_u32_e32 vcc, 0, v3
	v_cndmask_b32_e64 v3, 0, 1, vcc
	v_lshrrev_b32_e32 v5, 8, v6
	v_bfe_u32 v7, v6, 20, 11
	v_and_or_b32 v5, v5, s7, v3
	v_sub_u32_e32 v8, 0x3f1, v7
	v_or_b32_e32 v3, 0x1000, v5
	v_med3_i32 v8, v8, 0, 13
	v_lshrrev_b32_e32 v10, v8, v3
	v_lshlrev_b32_e32 v8, v8, v10
	v_mul_f16_sdwa v4, v23, v4 dst_sel:DWORD dst_unused:UNUSED_PAD src0_sel:WORD_1 src1_sel:DWORD
	v_cmp_ne_u32_e32 vcc, v8, v3
	v_fma_f16 v4, v23, v9, -v4
	v_cndmask_b32_e64 v3, 0, 1, vcc
	v_add_u32_e32 v7, 0xfffffc10, v7
	v_cvt_f32_f16_e32 v4, v4
	v_or_b32_e32 v3, v10, v3
	v_lshl_or_b32 v8, v7, 12, v5
	v_cmp_gt_i32_e32 vcc, 1, v7
	v_cndmask_b32_e32 v3, v8, v3, vcc
	v_and_b32_e32 v8, 7, v3
	v_cmp_lt_i32_e32 vcc, 5, v8
	v_cmp_eq_u32_e64 s[0:1], 3, v8
	v_lshrrev_b32_e32 v8, 2, v3
	v_cvt_f64_f32_e32 v[3:4], v4
	s_or_b64 vcc, s[0:1], vcc
	v_addc_co_u32_e32 v8, vcc, 0, v8, vcc
	v_mul_f64 v[3:4], v[3:4], s[2:3]
	v_cmp_gt_i32_e32 vcc, 31, v7
	v_cndmask_b32_e32 v8, v0, v8, vcc
	v_cmp_ne_u32_e32 vcc, 0, v5
	v_cndmask_b32_e64 v5, 0, 1, vcc
	v_lshl_or_b32 v5, v5, 9, v0
	v_cmp_eq_u32_e32 vcc, s10, v7
	v_cndmask_b32_e32 v5, v8, v5, vcc
	v_and_or_b32 v3, v4, s6, v3
	v_lshrrev_b32_e32 v6, 16, v6
	v_cmp_ne_u32_e32 vcc, 0, v3
	v_and_or_b32 v9, v6, s11, v5
	v_cndmask_b32_e64 v3, 0, 1, vcc
	v_lshrrev_b32_e32 v5, 8, v4
	v_bfe_u32 v6, v4, 20, 11
	v_and_or_b32 v3, v5, s7, v3
	v_sub_u32_e32 v7, 0x3f1, v6
	v_or_b32_e32 v5, 0x1000, v3
	v_med3_i32 v7, v7, 0, 13
	v_lshrrev_b32_e32 v8, v7, v5
	v_lshlrev_b32_e32 v7, v7, v8
	v_cmp_ne_u32_e32 vcc, v7, v5
	v_cndmask_b32_e64 v5, 0, 1, vcc
	v_add_u32_e32 v7, 0xfffffc10, v6
	v_or_b32_e32 v5, v8, v5
	v_lshl_or_b32 v6, v7, 12, v3
	v_cmp_gt_i32_e32 vcc, 1, v7
	v_cndmask_b32_e32 v5, v6, v5, vcc
	v_and_b32_e32 v6, 7, v5
	v_cmp_lt_i32_e32 vcc, 5, v6
	v_cmp_eq_u32_e64 s[0:1], 3, v6
	v_lshrrev_b32_e32 v5, 2, v5
	s_or_b64 vcc, s[0:1], vcc
	v_addc_co_u32_e32 v8, vcc, 0, v5, vcc
	ds_read2_b32 v[5:6], v20 offset0:130 offset1:143
	v_cmp_gt_i32_e32 vcc, 31, v7
	v_cndmask_b32_e32 v8, v0, v8, vcc
	v_cmp_ne_u32_e32 vcc, 0, v3
	v_cndmask_b32_e64 v3, 0, 1, vcc
	s_waitcnt lgkmcnt(0)
	v_lshrrev_b32_e32 v10, 16, v5
	v_mul_f16_sdwa v11, v22, v10 dst_sel:DWORD dst_unused:UNUSED_PAD src0_sel:WORD_1 src1_sel:DWORD
	v_fma_f16 v11, v22, v5, v11
	v_cvt_f32_f16_e32 v11, v11
	v_lshl_or_b32 v3, v3, 9, v0
	v_cmp_eq_u32_e32 vcc, s10, v7
	v_cndmask_b32_e32 v3, v8, v3, vcc
	v_cvt_f64_f32_e32 v[7:8], v11
	v_lshrrev_b32_e32 v4, 16, v4
	v_and_or_b32 v11, v4, s11, v3
	v_add_co_u32_e32 v1, vcc, s5, v1
	v_mul_f64 v[3:4], v[7:8], s[2:3]
	v_mov_b32_e32 v8, s4
	v_and_b32_e32 v9, 0xffff, v9
	v_addc_co_u32_e32 v2, vcc, v2, v8, vcc
	v_lshl_or_b32 v7, v11, 16, v9
	global_store_dword v[1:2], v7, off
	v_mul_f16_sdwa v5, v22, v5 dst_sel:DWORD dst_unused:UNUSED_PAD src0_sel:WORD_1 src1_sel:DWORD
	v_and_or_b32 v3, v4, s6, v3
	v_cmp_ne_u32_e32 vcc, 0, v3
	v_cndmask_b32_e64 v3, 0, 1, vcc
	v_lshrrev_b32_e32 v7, 8, v4
	v_bfe_u32 v8, v4, 20, 11
	v_and_or_b32 v3, v7, s7, v3
	v_sub_u32_e32 v9, 0x3f1, v8
	v_or_b32_e32 v7, 0x1000, v3
	v_med3_i32 v9, v9, 0, 13
	v_lshrrev_b32_e32 v11, v9, v7
	v_lshlrev_b32_e32 v9, v9, v11
	v_cmp_ne_u32_e32 vcc, v9, v7
	v_fma_f16 v5, v22, v10, -v5
	v_cndmask_b32_e64 v7, 0, 1, vcc
	v_add_u32_e32 v9, 0xfffffc10, v8
	v_cvt_f32_f16_e32 v5, v5
	v_or_b32_e32 v7, v11, v7
	v_lshl_or_b32 v8, v9, 12, v3
	v_cmp_gt_i32_e32 vcc, 1, v9
	v_cndmask_b32_e32 v7, v8, v7, vcc
	v_and_b32_e32 v8, 7, v7
	v_cmp_lt_i32_e32 vcc, 5, v8
	v_cmp_eq_u32_e64 s[0:1], 3, v8
	v_lshrrev_b32_e32 v10, 2, v7
	v_cvt_f64_f32_e32 v[7:8], v5
	s_or_b64 vcc, s[0:1], vcc
	v_addc_co_u32_e32 v5, vcc, 0, v10, vcc
	v_mul_f64 v[7:8], v[7:8], s[2:3]
	v_cmp_gt_i32_e32 vcc, 31, v9
	v_cndmask_b32_e32 v5, v0, v5, vcc
	v_cmp_ne_u32_e32 vcc, 0, v3
	v_cndmask_b32_e64 v3, 0, 1, vcc
	v_lshl_or_b32 v3, v3, 9, v0
	v_cmp_eq_u32_e32 vcc, s10, v9
	v_cndmask_b32_e32 v3, v5, v3, vcc
	v_lshrrev_b32_e32 v4, 16, v4
	v_and_or_b32 v5, v4, s11, v3
	v_and_or_b32 v3, v8, s6, v7
	v_cmp_ne_u32_e32 vcc, 0, v3
	v_cndmask_b32_e64 v3, 0, 1, vcc
	v_lshrrev_b32_e32 v4, 8, v8
	v_bfe_u32 v7, v8, 20, 11
	v_and_or_b32 v3, v4, s7, v3
	v_sub_u32_e32 v9, 0x3f1, v7
	v_or_b32_e32 v4, 0x1000, v3
	v_med3_i32 v9, v9, 0, 13
	v_lshrrev_b32_e32 v10, v9, v4
	v_lshlrev_b32_e32 v9, v9, v10
	v_cmp_ne_u32_e32 vcc, v9, v4
	v_cndmask_b32_e64 v4, 0, 1, vcc
	v_add_u32_e32 v7, 0xfffffc10, v7
	v_or_b32_e32 v4, v10, v4
	v_lshl_or_b32 v9, v7, 12, v3
	v_cmp_gt_i32_e32 vcc, 1, v7
	v_cndmask_b32_e32 v4, v9, v4, vcc
	v_and_b32_e32 v9, 7, v4
	v_cmp_lt_i32_e32 vcc, 5, v9
	v_cmp_eq_u32_e64 s[0:1], 3, v9
	v_lshrrev_b32_e32 v9, 16, v6
	v_lshrrev_b32_e32 v4, 2, v4
	s_or_b64 vcc, s[0:1], vcc
	v_mul_f16_sdwa v10, v21, v9 dst_sel:DWORD dst_unused:UNUSED_PAD src0_sel:WORD_1 src1_sel:DWORD
	v_addc_co_u32_e32 v4, vcc, 0, v4, vcc
	v_fma_f16 v10, v21, v6, v10
	v_cmp_gt_i32_e32 vcc, 31, v7
	v_cvt_f32_f16_e32 v10, v10
	v_cndmask_b32_e32 v4, v0, v4, vcc
	v_cmp_ne_u32_e32 vcc, 0, v3
	v_cndmask_b32_e64 v3, 0, 1, vcc
	v_lshl_or_b32 v3, v3, 9, v0
	v_cmp_eq_u32_e32 vcc, s10, v7
	v_cndmask_b32_e32 v7, v4, v3, vcc
	v_cvt_f64_f32_e32 v[3:4], v10
	v_lshrrev_b32_e32 v8, 16, v8
	v_and_or_b32 v7, v8, s11, v7
	v_and_b32_e32 v5, 0xffff, v5
	v_mul_f64 v[3:4], v[3:4], s[2:3]
	v_lshl_or_b32 v5, v7, 16, v5
	v_mov_b32_e32 v7, s4
	v_add_co_u32_e32 v1, vcc, s5, v1
	v_addc_co_u32_e32 v2, vcc, v2, v7, vcc
	global_store_dword v[1:2], v5, off
	v_and_or_b32 v3, v4, s6, v3
	v_cmp_ne_u32_e32 vcc, 0, v3
	v_cndmask_b32_e64 v3, 0, 1, vcc
	v_lshrrev_b32_e32 v5, 8, v4
	v_bfe_u32 v7, v4, 20, 11
	v_and_or_b32 v3, v5, s7, v3
	v_sub_u32_e32 v8, 0x3f1, v7
	v_or_b32_e32 v5, 0x1000, v3
	v_med3_i32 v8, v8, 0, 13
	v_lshrrev_b32_e32 v10, v8, v5
	v_lshlrev_b32_e32 v8, v8, v10
	v_mul_f16_sdwa v6, v21, v6 dst_sel:DWORD dst_unused:UNUSED_PAD src0_sel:WORD_1 src1_sel:DWORD
	v_cmp_ne_u32_e32 vcc, v8, v5
	v_fma_f16 v6, v21, v9, -v6
	v_cndmask_b32_e64 v5, 0, 1, vcc
	v_add_u32_e32 v7, 0xfffffc10, v7
	v_cvt_f32_f16_e32 v6, v6
	v_or_b32_e32 v5, v10, v5
	v_lshl_or_b32 v8, v7, 12, v3
	v_cmp_gt_i32_e32 vcc, 1, v7
	v_cndmask_b32_e32 v5, v8, v5, vcc
	v_and_b32_e32 v8, 7, v5
	v_cmp_lt_i32_e32 vcc, 5, v8
	v_cmp_eq_u32_e64 s[0:1], 3, v8
	v_lshrrev_b32_e32 v8, 2, v5
	v_cvt_f64_f32_e32 v[5:6], v6
	s_or_b64 vcc, s[0:1], vcc
	v_addc_co_u32_e32 v8, vcc, 0, v8, vcc
	v_mul_f64 v[5:6], v[5:6], s[2:3]
	v_cmp_gt_i32_e32 vcc, 31, v7
	v_cndmask_b32_e32 v8, v0, v8, vcc
	v_cmp_ne_u32_e32 vcc, 0, v3
	v_cndmask_b32_e64 v3, 0, 1, vcc
	v_lshl_or_b32 v3, v3, 9, v0
	v_cmp_eq_u32_e32 vcc, s10, v7
	v_cndmask_b32_e32 v3, v8, v3, vcc
	v_lshrrev_b32_e32 v4, 16, v4
	v_and_or_b32 v7, v4, s11, v3
	v_and_or_b32 v3, v6, s6, v5
	v_cmp_ne_u32_e32 vcc, 0, v3
	v_cndmask_b32_e64 v3, 0, 1, vcc
	v_lshrrev_b32_e32 v4, 8, v6
	v_bfe_u32 v5, v6, 20, 11
	v_and_or_b32 v3, v4, s7, v3
	v_sub_u32_e32 v8, 0x3f1, v5
	v_or_b32_e32 v4, 0x1000, v3
	v_med3_i32 v8, v8, 0, 13
	v_lshrrev_b32_e32 v9, v8, v4
	v_lshlrev_b32_e32 v8, v8, v9
	v_cmp_ne_u32_e32 vcc, v8, v4
	v_cndmask_b32_e64 v4, 0, 1, vcc
	v_add_u32_e32 v5, 0xfffffc10, v5
	v_or_b32_e32 v4, v9, v4
	v_lshl_or_b32 v8, v5, 12, v3
	v_cmp_gt_i32_e32 vcc, 1, v5
	v_cndmask_b32_e32 v4, v8, v4, vcc
	v_and_b32_e32 v8, 7, v4
	v_cmp_lt_i32_e32 vcc, 5, v8
	v_cmp_eq_u32_e64 s[0:1], 3, v8
	ds_read_b32 v8, v20 offset:624
	v_lshrrev_b32_e32 v4, 2, v4
	s_or_b64 vcc, s[0:1], vcc
	v_addc_co_u32_e32 v4, vcc, 0, v4, vcc
	s_waitcnt lgkmcnt(0)
	v_lshrrev_b32_e32 v9, 16, v8
	v_mul_f16_sdwa v10, v19, v9 dst_sel:DWORD dst_unused:UNUSED_PAD src0_sel:WORD_1 src1_sel:DWORD
	v_fma_f16 v10, v19, v8, v10
	v_cmp_gt_i32_e32 vcc, 31, v5
	v_cvt_f32_f16_e32 v10, v10
	v_cndmask_b32_e32 v4, v0, v4, vcc
	v_cmp_ne_u32_e32 vcc, 0, v3
	v_cndmask_b32_e64 v3, 0, 1, vcc
	v_lshl_or_b32 v3, v3, 9, v0
	v_cmp_eq_u32_e32 vcc, s10, v5
	v_cndmask_b32_e32 v5, v4, v3, vcc
	v_cvt_f64_f32_e32 v[3:4], v10
	v_lshrrev_b32_e32 v6, 16, v6
	v_and_or_b32 v5, v6, s11, v5
	v_and_b32_e32 v6, 0xffff, v7
	v_mul_f64 v[3:4], v[3:4], s[2:3]
	v_lshl_or_b32 v5, v5, 16, v6
	v_mov_b32_e32 v6, s4
	v_add_co_u32_e32 v1, vcc, s5, v1
	v_addc_co_u32_e32 v2, vcc, v2, v6, vcc
	global_store_dword v[1:2], v5, off
	v_and_or_b32 v3, v4, s6, v3
	v_cmp_ne_u32_e32 vcc, 0, v3
	v_cndmask_b32_e64 v3, 0, 1, vcc
	v_lshrrev_b32_e32 v5, 8, v4
	v_bfe_u32 v6, v4, 20, 11
	v_and_or_b32 v3, v5, s7, v3
	v_sub_u32_e32 v7, 0x3f1, v6
	v_or_b32_e32 v5, 0x1000, v3
	v_med3_i32 v7, v7, 0, 13
	v_lshrrev_b32_e32 v10, v7, v5
	v_lshlrev_b32_e32 v7, v7, v10
	v_mul_f16_sdwa v8, v19, v8 dst_sel:DWORD dst_unused:UNUSED_PAD src0_sel:WORD_1 src1_sel:DWORD
	v_cmp_ne_u32_e32 vcc, v7, v5
	v_fma_f16 v8, v19, v9, -v8
	v_cndmask_b32_e64 v5, 0, 1, vcc
	v_add_u32_e32 v7, 0xfffffc10, v6
	v_cvt_f32_f16_e32 v8, v8
	v_or_b32_e32 v5, v10, v5
	v_lshl_or_b32 v6, v7, 12, v3
	v_cmp_gt_i32_e32 vcc, 1, v7
	v_cndmask_b32_e32 v5, v6, v5, vcc
	v_and_b32_e32 v6, 7, v5
	v_cmp_lt_i32_e32 vcc, 5, v6
	v_cmp_eq_u32_e64 s[0:1], 3, v6
	v_lshrrev_b32_e32 v9, 2, v5
	v_cvt_f64_f32_e32 v[5:6], v8
	s_or_b64 vcc, s[0:1], vcc
	v_addc_co_u32_e32 v8, vcc, 0, v9, vcc
	v_mul_f64 v[5:6], v[5:6], s[2:3]
	v_cmp_gt_i32_e32 vcc, 31, v7
	v_cndmask_b32_e32 v8, v0, v8, vcc
	v_cmp_ne_u32_e32 vcc, 0, v3
	v_cndmask_b32_e64 v3, 0, 1, vcc
	v_lshl_or_b32 v3, v3, 9, v0
	v_cmp_eq_u32_e32 vcc, s10, v7
	v_cndmask_b32_e32 v3, v8, v3, vcc
	v_lshrrev_b32_e32 v4, 16, v4
	v_and_or_b32 v3, v4, s11, v3
	v_and_or_b32 v4, v6, s6, v5
	v_cmp_ne_u32_e32 vcc, 0, v4
	v_cndmask_b32_e64 v4, 0, 1, vcc
	v_lshrrev_b32_e32 v5, 8, v6
	v_bfe_u32 v7, v6, 20, 11
	v_and_or_b32 v4, v5, s7, v4
	v_sub_u32_e32 v8, 0x3f1, v7
	v_or_b32_e32 v5, 0x1000, v4
	v_med3_i32 v8, v8, 0, 13
	v_lshrrev_b32_e32 v9, v8, v5
	v_lshlrev_b32_e32 v8, v8, v9
	v_cmp_ne_u32_e32 vcc, v8, v5
	v_cndmask_b32_e64 v5, 0, 1, vcc
	v_add_u32_e32 v7, 0xfffffc10, v7
	v_or_b32_e32 v5, v9, v5
	v_lshl_or_b32 v8, v7, 12, v4
	v_cmp_gt_i32_e32 vcc, 1, v7
	v_cndmask_b32_e32 v5, v8, v5, vcc
	v_and_b32_e32 v8, 7, v5
	v_cmp_lt_i32_e32 vcc, 5, v8
	v_cmp_eq_u32_e64 s[0:1], 3, v8
	v_lshrrev_b32_e32 v5, 2, v5
	s_or_b64 vcc, s[0:1], vcc
	v_addc_co_u32_e32 v5, vcc, 0, v5, vcc
	v_cmp_gt_i32_e32 vcc, 31, v7
	v_cndmask_b32_e32 v5, v0, v5, vcc
	v_cmp_ne_u32_e32 vcc, 0, v4
	v_cndmask_b32_e64 v4, 0, 1, vcc
	v_lshl_or_b32 v0, v4, 9, v0
	v_cmp_eq_u32_e32 vcc, s10, v7
	v_cndmask_b32_e32 v0, v5, v0, vcc
	v_lshrrev_b32_e32 v4, 16, v6
	v_and_or_b32 v0, v4, s11, v0
	v_and_b32_e32 v3, 0xffff, v3
	v_lshl_or_b32 v3, v0, 16, v3
	v_mov_b32_e32 v4, s4
	v_add_co_u32_e32 v0, vcc, s5, v1
	v_addc_co_u32_e32 v1, vcc, v2, v4, vcc
	global_store_dword v[0:1], v3, off
.LBB0_2:
	s_endpgm
	.section	.rodata,"a",@progbits
	.p2align	6, 0x0
	.amdhsa_kernel bluestein_single_fwd_len169_dim1_half_op_CI_CI
		.amdhsa_group_segment_fixed_size 12844
		.amdhsa_private_segment_fixed_size 0
		.amdhsa_kernarg_size 104
		.amdhsa_user_sgpr_count 6
		.amdhsa_user_sgpr_private_segment_buffer 1
		.amdhsa_user_sgpr_dispatch_ptr 0
		.amdhsa_user_sgpr_queue_ptr 0
		.amdhsa_user_sgpr_kernarg_segment_ptr 1
		.amdhsa_user_sgpr_dispatch_id 0
		.amdhsa_user_sgpr_flat_scratch_init 0
		.amdhsa_user_sgpr_private_segment_size 0
		.amdhsa_uses_dynamic_stack 0
		.amdhsa_system_sgpr_private_segment_wavefront_offset 0
		.amdhsa_system_sgpr_workgroup_id_x 1
		.amdhsa_system_sgpr_workgroup_id_y 0
		.amdhsa_system_sgpr_workgroup_id_z 0
		.amdhsa_system_sgpr_workgroup_info 0
		.amdhsa_system_vgpr_workitem_id 0
		.amdhsa_next_free_vgpr 119
		.amdhsa_next_free_sgpr 25
		.amdhsa_reserve_vcc 1
		.amdhsa_reserve_flat_scratch 0
		.amdhsa_float_round_mode_32 0
		.amdhsa_float_round_mode_16_64 0
		.amdhsa_float_denorm_mode_32 3
		.amdhsa_float_denorm_mode_16_64 3
		.amdhsa_dx10_clamp 1
		.amdhsa_ieee_mode 1
		.amdhsa_fp16_overflow 0
		.amdhsa_exception_fp_ieee_invalid_op 0
		.amdhsa_exception_fp_denorm_src 0
		.amdhsa_exception_fp_ieee_div_zero 0
		.amdhsa_exception_fp_ieee_overflow 0
		.amdhsa_exception_fp_ieee_underflow 0
		.amdhsa_exception_fp_ieee_inexact 0
		.amdhsa_exception_int_div_zero 0
	.end_amdhsa_kernel
	.text
.Lfunc_end0:
	.size	bluestein_single_fwd_len169_dim1_half_op_CI_CI, .Lfunc_end0-bluestein_single_fwd_len169_dim1_half_op_CI_CI
                                        ; -- End function
	.section	.AMDGPU.csdata,"",@progbits
; Kernel info:
; codeLenInByte = 21136
; NumSgprs: 29
; NumVgprs: 119
; ScratchSize: 0
; MemoryBound: 0
; FloatMode: 240
; IeeeMode: 1
; LDSByteSize: 12844 bytes/workgroup (compile time only)
; SGPRBlocks: 3
; VGPRBlocks: 29
; NumSGPRsForWavesPerEU: 29
; NumVGPRsForWavesPerEU: 119
; Occupancy: 2
; WaveLimiterHint : 1
; COMPUTE_PGM_RSRC2:SCRATCH_EN: 0
; COMPUTE_PGM_RSRC2:USER_SGPR: 6
; COMPUTE_PGM_RSRC2:TRAP_HANDLER: 0
; COMPUTE_PGM_RSRC2:TGID_X_EN: 1
; COMPUTE_PGM_RSRC2:TGID_Y_EN: 0
; COMPUTE_PGM_RSRC2:TGID_Z_EN: 0
; COMPUTE_PGM_RSRC2:TIDIG_COMP_CNT: 0
	.type	__hip_cuid_703b19925226d57e,@object ; @__hip_cuid_703b19925226d57e
	.section	.bss,"aw",@nobits
	.globl	__hip_cuid_703b19925226d57e
__hip_cuid_703b19925226d57e:
	.byte	0                               ; 0x0
	.size	__hip_cuid_703b19925226d57e, 1

	.ident	"AMD clang version 19.0.0git (https://github.com/RadeonOpenCompute/llvm-project roc-6.4.0 25133 c7fe45cf4b819c5991fe208aaa96edf142730f1d)"
	.section	".note.GNU-stack","",@progbits
	.addrsig
	.addrsig_sym __hip_cuid_703b19925226d57e
	.amdgpu_metadata
---
amdhsa.kernels:
  - .args:
      - .actual_access:  read_only
        .address_space:  global
        .offset:         0
        .size:           8
        .value_kind:     global_buffer
      - .actual_access:  read_only
        .address_space:  global
        .offset:         8
        .size:           8
        .value_kind:     global_buffer
      - .actual_access:  read_only
        .address_space:  global
        .offset:         16
        .size:           8
        .value_kind:     global_buffer
      - .actual_access:  read_only
        .address_space:  global
        .offset:         24
        .size:           8
        .value_kind:     global_buffer
      - .actual_access:  read_only
        .address_space:  global
        .offset:         32
        .size:           8
        .value_kind:     global_buffer
      - .offset:         40
        .size:           8
        .value_kind:     by_value
      - .address_space:  global
        .offset:         48
        .size:           8
        .value_kind:     global_buffer
      - .address_space:  global
        .offset:         56
        .size:           8
        .value_kind:     global_buffer
      - .address_space:  global
        .offset:         64
        .size:           8
        .value_kind:     global_buffer
      - .address_space:  global
        .offset:         72
        .size:           8
        .value_kind:     global_buffer
      - .offset:         80
        .size:           4
        .value_kind:     by_value
      - .address_space:  global
        .offset:         88
        .size:           8
        .value_kind:     global_buffer
      - .address_space:  global
        .offset:         96
        .size:           8
        .value_kind:     global_buffer
    .group_segment_fixed_size: 12844
    .kernarg_segment_align: 8
    .kernarg_segment_size: 104
    .language:       OpenCL C
    .language_version:
      - 2
      - 0
    .max_flat_workgroup_size: 247
    .name:           bluestein_single_fwd_len169_dim1_half_op_CI_CI
    .private_segment_fixed_size: 0
    .sgpr_count:     29
    .sgpr_spill_count: 0
    .symbol:         bluestein_single_fwd_len169_dim1_half_op_CI_CI.kd
    .uniform_work_group_size: 1
    .uses_dynamic_stack: false
    .vgpr_count:     119
    .vgpr_spill_count: 0
    .wavefront_size: 64
amdhsa.target:   amdgcn-amd-amdhsa--gfx906
amdhsa.version:
  - 1
  - 2
...

	.end_amdgpu_metadata
